;; amdgpu-corpus repo=ROCm/rocFFT kind=compiled arch=gfx1201 opt=O3
	.text
	.amdgcn_target "amdgcn-amd-amdhsa--gfx1201"
	.amdhsa_code_object_version 6
	.protected	bluestein_single_back_len1584_dim1_sp_op_CI_CI ; -- Begin function bluestein_single_back_len1584_dim1_sp_op_CI_CI
	.globl	bluestein_single_back_len1584_dim1_sp_op_CI_CI
	.p2align	8
	.type	bluestein_single_back_len1584_dim1_sp_op_CI_CI,@function
bluestein_single_back_len1584_dim1_sp_op_CI_CI: ; @bluestein_single_back_len1584_dim1_sp_op_CI_CI
; %bb.0:
	s_load_b128 s[8:11], s[0:1], 0x28
	v_mul_u32_u24_e32 v1, 0x175, v0
	s_mov_b32 s2, exec_lo
	v_mov_b32_e32 v66, 0
	s_delay_alu instid0(VALU_DEP_2) | instskip(NEXT) | instid1(VALU_DEP_1)
	v_lshrrev_b32_e32 v1, 16, v1
	v_add_nc_u32_e32 v65, ttmp9, v1
	s_wait_kmcnt 0x0
	s_delay_alu instid0(VALU_DEP_1)
	v_cmpx_gt_u64_e64 s[8:9], v[65:66]
	s_cbranch_execz .LBB0_39
; %bb.1:
	s_clause 0x1
	s_load_b128 s[4:7], s[0:1], 0x18
	s_load_b64 s[16:17], s[0:1], 0x0
	v_mul_lo_u16 v1, 0xb0, v1
	s_movk_i32 s2, 0xfc0c
	s_mov_b32 s3, -1
	s_delay_alu instid0(VALU_DEP_1) | instskip(NEXT) | instid1(VALU_DEP_1)
	v_sub_nc_u16 v22, v0, v1
	v_and_b32_e32 v89, 0xffff, v22
	s_wait_kmcnt 0x0
	s_load_b128 s[12:15], s[4:5], 0x0
	s_wait_kmcnt 0x0
	v_mad_co_u64_u32 v[0:1], null, s14, v65, 0
	v_mad_co_u64_u32 v[2:3], null, s12, v89, 0
	s_mul_u64 s[4:5], s[12:13], 0x18c
	s_mul_u64 s[2:3], s[12:13], s[2:3]
	s_delay_alu instid0(SALU_CYCLE_1) | instskip(NEXT) | instid1(VALU_DEP_1)
	s_lshl_b64 s[2:3], s[2:3], 3
	v_mad_co_u64_u32 v[4:5], null, s15, v65, v[1:2]
	s_delay_alu instid0(VALU_DEP_1) | instskip(NEXT) | instid1(VALU_DEP_3)
	v_dual_mov_b32 v1, v4 :: v_dual_lshlrev_b32 v88, 3, v89
	v_mad_co_u64_u32 v[5:6], null, s13, v89, v[3:4]
	s_clause 0x3
	global_load_b64 v[78:79], v88, s[16:17]
	global_load_b64 v[82:83], v88, s[16:17] offset:3168
	global_load_b64 v[80:81], v88, s[16:17] offset:6336
	;; [unrolled: 1-line block ×3, first 2 shown]
	v_lshlrev_b64_e32 v[0:1], 3, v[0:1]
	v_add_co_u32 v66, s12, s16, v88
	s_wait_alu 0xf1ff
	v_add_co_ci_u32_e64 v67, null, s17, 0, s12
	v_mov_b32_e32 v3, v5
	s_delay_alu instid0(VALU_DEP_4) | instskip(SKIP_1) | instid1(VALU_DEP_3)
	v_add_co_u32 v0, vcc_lo, s10, v0
	v_add_co_ci_u32_e32 v1, vcc_lo, s11, v1, vcc_lo
	v_lshlrev_b64_e32 v[2:3], 3, v[2:3]
	s_lshl_b64 s[10:11], s[4:5], 3
	s_delay_alu instid0(VALU_DEP_1) | instskip(SKIP_1) | instid1(VALU_DEP_2)
	v_add_co_u32 v0, vcc_lo, v0, v2
	s_wait_alu 0xfffd
	v_add_co_ci_u32_e32 v1, vcc_lo, v1, v3, vcc_lo
	s_wait_alu 0xfffe
	s_delay_alu instid0(VALU_DEP_2) | instskip(SKIP_1) | instid1(VALU_DEP_2)
	v_add_co_u32 v2, vcc_lo, v0, s10
	s_wait_alu 0xfffd
	v_add_co_ci_u32_e32 v3, vcc_lo, s11, v1, vcc_lo
	s_delay_alu instid0(VALU_DEP_2) | instskip(SKIP_1) | instid1(VALU_DEP_2)
	v_add_co_u32 v4, vcc_lo, v2, s10
	s_wait_alu 0xfffd
	v_add_co_ci_u32_e32 v5, vcc_lo, s11, v3, vcc_lo
	s_clause 0x1
	global_load_b64 v[6:7], v[0:1], off
	global_load_b64 v[2:3], v[2:3], off
	v_add_co_u32 v0, vcc_lo, v4, s10
	s_wait_alu 0xfffd
	v_add_co_ci_u32_e32 v1, vcc_lo, s11, v5, vcc_lo
	s_clause 0x1
	global_load_b64 v[4:5], v[4:5], off
	global_load_b64 v[10:11], v[0:1], off
	v_add_co_u32 v8, vcc_lo, v0, s2
	s_wait_alu 0xfffd
	v_add_co_ci_u32_e32 v9, vcc_lo, s3, v1, vcc_lo
	s_delay_alu instid0(VALU_DEP_2) | instskip(SKIP_1) | instid1(VALU_DEP_2)
	v_add_co_u32 v0, vcc_lo, v8, s10
	s_wait_alu 0xfffd
	v_add_co_ci_u32_e32 v1, vcc_lo, s11, v9, vcc_lo
	s_clause 0x1
	global_load_b64 v[68:69], v88, s[16:17] offset:4576
	global_load_b64 v[76:77], v88, s[16:17] offset:1408
	global_load_b64 v[8:9], v[8:9], off
	global_load_b64 v[12:13], v[0:1], off
	v_add_co_u32 v14, vcc_lo, v0, s10
	s_wait_alu 0xfffd
	v_add_co_ci_u32_e32 v15, vcc_lo, s11, v1, vcc_lo
	s_delay_alu instid0(VALU_DEP_2) | instskip(SKIP_1) | instid1(VALU_DEP_2)
	v_add_co_u32 v0, vcc_lo, v14, s10
	s_wait_alu 0xfffd
	v_add_co_ci_u32_e32 v1, vcc_lo, s11, v15, vcc_lo
	s_clause 0x1
	global_load_b64 v[72:73], v88, s[16:17] offset:10912
	global_load_b64 v[74:75], v88, s[16:17] offset:7744
	global_load_b64 v[14:15], v[14:15], off
	global_load_b64 v[16:17], v[0:1], off
	s_load_b64 s[8:9], s[0:1], 0x38
	s_load_b128 s[4:7], s[6:7], 0x0
	v_cmp_gt_u16_e32 vcc_lo, 44, v22
	s_wait_loadcnt 0xb
	v_mul_f32_e32 v19, v6, v79
	s_wait_loadcnt 0xa
	v_mul_f32_e32 v20, v3, v83
	v_mul_f32_e32 v18, v7, v79
	s_delay_alu instid0(VALU_DEP_3)
	v_fma_f32 v19, v7, v78, -v19
	v_mul_f32_e32 v7, v2, v83
	s_wait_loadcnt 0x9
	v_dual_mul_f32 v23, v4, v81 :: v_dual_fmac_f32 v20, v2, v82
	v_mul_f32_e32 v2, v5, v81
	v_fmac_f32_e32 v18, v6, v78
	s_wait_loadcnt 0x8
	v_mul_f32_e32 v6, v11, v71
	v_mul_f32_e32 v24, v10, v71
	v_fmac_f32_e32 v2, v4, v80
	v_fma_f32 v21, v3, v82, -v7
	v_fma_f32 v3, v5, v80, -v23
	v_fmac_f32_e32 v6, v10, v70
	v_fma_f32 v7, v11, v70, -v24
	s_wait_loadcnt 0x5
	v_mul_f32_e32 v4, v9, v77
	v_mul_f32_e32 v5, v8, v77
	s_wait_loadcnt 0x4
	v_mul_f32_e32 v10, v13, v69
	ds_store_b64 v88, v[20:21] offset:3168
	ds_store_b64 v88, v[2:3] offset:6336
	ds_store_b64 v88, v[6:7] offset:9504
	v_mul_f32_e32 v3, v12, v69
	v_fma_f32 v5, v9, v76, -v5
	s_wait_loadcnt 0x1
	v_dual_fmac_f32 v10, v12, v68 :: v_dual_mul_f32 v7, v14, v75
	v_mul_f32_e32 v2, v15, v75
	v_fmac_f32_e32 v4, v8, v76
	s_wait_loadcnt 0x0
	v_mul_f32_e32 v6, v17, v73
	v_mul_f32_e32 v8, v16, v73
	v_fma_f32 v11, v13, v68, -v3
	v_fmac_f32_e32 v2, v14, v74
	v_fma_f32 v3, v15, v74, -v7
	v_fmac_f32_e32 v6, v16, v72
	v_fma_f32 v7, v17, v72, -v8
	ds_store_2addr_b64 v88, v[18:19], v[4:5] offset1:176
	ds_store_b64 v88, v[10:11] offset:4576
	ds_store_b64 v88, v[2:3] offset:7744
	;; [unrolled: 1-line block ×3, first 2 shown]
	s_and_saveexec_b32 s12, vcc_lo
	s_cbranch_execz .LBB0_3
; %bb.2:
	v_add_co_u32 v0, s2, v0, s2
	s_wait_alu 0xf1ff
	v_add_co_ci_u32_e64 v1, s2, s3, v1, s2
	s_delay_alu instid0(VALU_DEP_2) | instskip(SKIP_1) | instid1(VALU_DEP_2)
	v_add_co_u32 v2, s2, v0, s10
	s_wait_alu 0xf1ff
	v_add_co_ci_u32_e64 v3, s2, s11, v1, s2
	global_load_b64 v[4:5], v[66:67], off offset:2816
	global_load_b64 v[0:1], v[0:1], off
	global_load_b64 v[6:7], v[2:3], off
	v_add_co_u32 v2, s2, v2, s10
	s_wait_alu 0xf1ff
	v_add_co_ci_u32_e64 v3, s2, s11, v3, s2
	global_load_b64 v[8:9], v[66:67], off offset:5984
	v_add_co_u32 v10, s2, v2, s10
	s_wait_alu 0xf1ff
	v_add_co_ci_u32_e64 v11, s2, s11, v3, s2
	global_load_b64 v[2:3], v[2:3], off
	s_clause 0x1
	global_load_b64 v[12:13], v[66:67], off offset:9152
	global_load_b64 v[14:15], v[66:67], off offset:12320
	global_load_b64 v[10:11], v[10:11], off
	s_wait_loadcnt 0x6
	v_mul_f32_e32 v16, v1, v5
	v_mul_f32_e32 v17, v0, v5
	s_wait_loadcnt 0x4
	v_mul_f32_e32 v5, v7, v9
	s_delay_alu instid0(VALU_DEP_1) | instskip(SKIP_3) | instid1(VALU_DEP_1)
	v_fmac_f32_e32 v5, v6, v8
	v_fmac_f32_e32 v16, v0, v4
	s_wait_loadcnt 0x2
	v_mul_f32_e32 v0, v3, v13
	v_fmac_f32_e32 v0, v2, v12
	v_fma_f32 v17, v1, v4, -v17
	v_mul_f32_e32 v1, v6, v9
	s_wait_loadcnt 0x0
	v_dual_mul_f32 v4, v2, v13 :: v_dual_mul_f32 v9, v11, v15
	v_mul_f32_e32 v13, v10, v15
	s_delay_alu instid0(VALU_DEP_3) | instskip(NEXT) | instid1(VALU_DEP_3)
	v_fma_f32 v6, v7, v8, -v1
	v_fma_f32 v1, v3, v12, -v4
	s_delay_alu instid0(VALU_DEP_4) | instskip(NEXT) | instid1(VALU_DEP_4)
	v_fmac_f32_e32 v9, v10, v14
	v_fma_f32 v10, v11, v14, -v13
	ds_store_b64 v88, v[16:17] offset:2816
	ds_store_b64 v88, v[5:6] offset:5984
	;; [unrolled: 1-line block ×4, first 2 shown]
.LBB0_3:
	s_wait_alu 0xfffe
	s_or_b32 exec_lo, exec_lo, s12
	v_add_nc_u32_e32 v4, 0xc00, v88
	v_add_nc_u32_e32 v8, 0x1800, v88
	;; [unrolled: 1-line block ×3, first 2 shown]
	global_wb scope:SCOPE_SE
	s_wait_dscnt 0x0
	s_wait_kmcnt 0x0
	s_barrier_signal -1
	s_barrier_wait -1
	global_inv scope:SCOPE_SE
	ds_load_2addr_b64 v[0:3], v88 offset1:176
	ds_load_2addr_b64 v[4:7], v4 offset0:12 offset1:188
	ds_load_2addr_b64 v[12:15], v8 offset0:24 offset1:200
	ds_load_2addr_b64 v[8:11], v9 offset0:36 offset1:212
                                        ; implicit-def: $vgpr20
                                        ; implicit-def: $vgpr22
                                        ; implicit-def: $vgpr16
                                        ; implicit-def: $vgpr18
	s_and_saveexec_b32 s2, vcc_lo
	s_cbranch_execz .LBB0_5
; %bb.4:
	ds_load_b64 v[18:19], v88 offset:2816
	ds_load_b64 v[16:17], v88 offset:5984
	;; [unrolled: 1-line block ×4, first 2 shown]
.LBB0_5:
	s_wait_alu 0xfffe
	s_or_b32 exec_lo, exec_lo, s2
	s_wait_dscnt 0x1
	v_dual_sub_f32 v26, v0, v12 :: v_dual_sub_f32 v27, v1, v13
	s_wait_dscnt 0x0
	v_sub_f32_e32 v25, v4, v8
	s_load_b64 s[2:3], s[0:1], 0x8
	v_add_co_u32 v24, null, 0xb0, v89
	v_fma_f32 v0, v0, 2.0, -v26
	s_delay_alu instid0(VALU_DEP_3) | instskip(SKIP_3) | instid1(VALU_DEP_4)
	v_fma_f32 v4, v4, 2.0, -v25
	v_sub_f32_e32 v13, v5, v9
	v_fma_f32 v1, v1, 2.0, -v27
	v_add_co_u32 v44, null, 0x160, v89
	v_sub_f32_e32 v8, v0, v4
	s_delay_alu instid0(VALU_DEP_4)
	v_fma_f32 v5, v5, 2.0, -v13
	v_sub_f32_e32 v4, v2, v14
	v_sub_f32_e32 v28, v7, v11
	v_add_f32_e32 v11, v27, v25
	v_fma_f32 v12, v0, 2.0, -v8
	v_dual_sub_f32 v9, v1, v5 :: v_dual_sub_f32 v0, v3, v15
	v_sub_f32_e32 v5, v6, v10
	v_fma_f32 v2, v2, 2.0, -v4
	v_fma_f32 v7, v7, 2.0, -v28
	v_sub_f32_e32 v10, v26, v13
	v_fma_f32 v3, v3, 2.0, -v0
	v_fma_f32 v6, v6, 2.0, -v5
	;; [unrolled: 1-line block ×3, first 2 shown]
	v_lshlrev_b32_e32 v96, 5, v24
	v_lshlrev_b32_e32 v94, 5, v44
	global_wb scope:SCOPE_SE
	v_sub_f32_e32 v25, v2, v6
	v_sub_f32_e32 v1, v16, v20
	s_wait_kmcnt 0x0
	s_barrier_signal -1
	s_barrier_wait -1
	global_inv scope:SCOPE_SE
	v_fma_f32 v29, v2, 2.0, -v25
	v_sub_f32_e32 v2, v18, v22
	v_sub_f32_e32 v22, v19, v23
	v_fma_f32 v15, v27, 2.0, -v11
	v_sub_f32_e32 v27, v4, v28
	v_fma_f32 v14, v26, 2.0, -v10
	;; [unrolled: 2-line block ×3, first 2 shown]
	v_sub_f32_e32 v6, v17, v21
	v_add_f32_e32 v28, v0, v5
	v_fma_f32 v18, v18, 2.0, -v2
	v_fma_f32 v5, v16, 2.0, -v1
	v_fma_f32 v30, v3, 2.0, -v26
	v_fma_f32 v7, v17, 2.0, -v6
	v_lshlrev_b16 v3, 2, v89
	v_fma_f32 v31, v4, 2.0, -v27
	s_delay_alu instid0(VALU_DEP_2) | instskip(NEXT) | instid1(VALU_DEP_4)
	v_and_b32_e32 v16, 0xffff, v3
	v_dual_sub_f32 v4, v18, v5 :: v_dual_sub_f32 v5, v19, v7
	v_sub_f32_e32 v6, v2, v6
	v_add_f32_e32 v7, v1, v22
	s_delay_alu instid0(VALU_DEP_4)
	v_lshlrev_b32_e32 v95, 3, v16
	v_fma_f32 v32, v0, 2.0, -v28
	v_fma_f32 v0, v18, 2.0, -v4
	v_fma_f32 v1, v19, 2.0, -v5
	v_fma_f32 v2, v2, 2.0, -v6
	v_fma_f32 v3, v22, 2.0, -v7
	ds_store_b128 v95, v[12:15]
	ds_store_b128 v95, v[8:11] offset:16
	ds_store_b128 v96, v[29:32]
	ds_store_b128 v96, v[25:28] offset:16
	s_and_saveexec_b32 s0, vcc_lo
	s_cbranch_execz .LBB0_7
; %bb.6:
	ds_store_b128 v94, v[0:3]
	ds_store_b128 v94, v[4:7] offset:16
.LBB0_7:
	s_wait_alu 0xfffe
	s_or_b32 exec_lo, exec_lo, s0
	v_add_nc_u32_e32 v8, 0x1800, v88
	v_add_nc_u32_e32 v9, 0xa00, v88
	;; [unrolled: 1-line block ×3, first 2 shown]
	global_wb scope:SCOPE_SE
	s_wait_dscnt 0x0
	s_barrier_signal -1
	s_barrier_wait -1
	global_inv scope:SCOPE_SE
	ds_load_2addr_b64 v[12:15], v88 offset1:176
	ds_load_2addr_b64 v[20:23], v8 offset0:24 offset1:200
	ds_load_2addr_b64 v[8:11], v9 offset0:32 offset1:208
	;; [unrolled: 1-line block ×3, first 2 shown]
	v_cmp_gt_u16_e64 s0, 0x58, v89
	s_delay_alu instid0(VALU_DEP_1)
	s_and_saveexec_b32 s1, s0
	s_cbranch_execz .LBB0_9
; %bb.8:
	ds_load_b64 v[0:1], v88 offset:5632
	ds_load_b64 v[2:3], v88 offset:11968
.LBB0_9:
	s_wait_alu 0xfffe
	s_or_b32 exec_lo, exec_lo, s1
	v_and_b32_e32 v64, 3, v89
	v_add_co_u32 v26, null, 0x2c0, v89
	s_delay_alu instid0(VALU_DEP_2)
	v_lshlrev_b32_e32 v25, 3, v64
	global_load_b64 v[62:63], v25, s[2:3]
	v_lshlrev_b32_e32 v46, 1, v89
	v_lshlrev_b32_e32 v45, 1, v24
	;; [unrolled: 1-line block ×4, first 2 shown]
	global_wb scope:SCOPE_SE
	s_wait_loadcnt_dscnt 0x0
	v_and_or_b32 v27, 0x1f8, v46, v64
	s_barrier_signal -1
	s_barrier_wait -1
	global_inv scope:SCOPE_SE
	v_lshlrev_b32_e32 v100, 3, v27
	v_mul_f32_e32 v27, v20, v63
	v_mul_f32_e32 v31, v16, v63
	v_and_or_b32 v29, 0x7f8, v24, v64
	v_and_or_b32 v28, 0x3f8, v45, v64
	v_mul_f32_e32 v33, v18, v63
	v_fmac_f32_e32 v27, v21, v62
	v_mul_f32_e32 v30, v17, v63
	v_dual_mul_f32 v35, v2, v63 :: v_dual_lshlrev_b32 v98, 3, v29
	v_mul_f32_e32 v29, v22, v63
	v_add_nc_u32_e32 v25, 0x420, v46
	v_dual_mul_f32 v32, v19, v63 :: v_dual_lshlrev_b32 v99, 3, v28
	v_mul_f32_e32 v28, v23, v63
	v_mul_f32_e32 v34, v3, v63
	s_delay_alu instid0(VALU_DEP_4) | instskip(NEXT) | instid1(VALU_DEP_1)
	v_and_or_b32 v26, 0x7f8, v25, v64
	v_dual_mul_f32 v26, v21, v63 :: v_dual_lshlrev_b32 v97, 3, v26
	s_delay_alu instid0(VALU_DEP_4)
	v_fma_f32 v21, v22, v62, -v28
	v_fma_f32 v22, v16, v62, -v30
	;; [unrolled: 1-line block ×3, first 2 shown]
	v_fmac_f32_e32 v35, v3, v62
	v_fma_f32 v20, v20, v62, -v26
	v_fmac_f32_e32 v29, v23, v62
	v_fma_f32 v23, v18, v62, -v32
	v_dual_fmac_f32 v31, v17, v62 :: v_dual_sub_f32 v16, v14, v21
	s_delay_alu instid0(VALU_DEP_4) | instskip(NEXT) | instid1(VALU_DEP_3)
	v_dual_fmac_f32 v33, v19, v62 :: v_dual_sub_f32 v2, v12, v20
	v_sub_f32_e32 v26, v10, v23
	v_dual_sub_f32 v3, v13, v27 :: v_dual_sub_f32 v18, v8, v22
	v_dual_sub_f32 v22, v0, v28 :: v_dual_sub_f32 v23, v1, v35
	v_sub_f32_e32 v17, v15, v29
	v_sub_f32_e32 v19, v9, v31
	;; [unrolled: 1-line block ×3, first 2 shown]
	v_fma_f32 v12, v12, 2.0, -v2
	v_fma_f32 v13, v13, 2.0, -v3
	;; [unrolled: 1-line block ×10, first 2 shown]
	ds_store_2addr_b64 v100, v[12:13], v[2:3] offset1:4
	ds_store_2addr_b64 v99, v[14:15], v[16:17] offset1:4
	;; [unrolled: 1-line block ×4, first 2 shown]
	s_and_saveexec_b32 s1, s0
	s_cbranch_execz .LBB0_11
; %bb.10:
	v_and_or_b32 v0, 0x7f8, v92, v64
	s_delay_alu instid0(VALU_DEP_1)
	v_lshlrev_b32_e32 v0, 3, v0
	ds_store_2addr_b64 v0, v[20:21], v[22:23] offset1:4
.LBB0_11:
	s_wait_alu 0xfffe
	s_or_b32 exec_lo, exec_lo, s1
	v_add_nc_u32_e32 v0, 0x1800, v88
	v_add_nc_u32_e32 v1, 0xa00, v88
	;; [unrolled: 1-line block ×3, first 2 shown]
	global_wb scope:SCOPE_SE
	s_wait_dscnt 0x0
	s_barrier_signal -1
	s_barrier_wait -1
	global_inv scope:SCOPE_SE
	ds_load_2addr_b64 v[8:11], v88 offset1:176
	ds_load_2addr_b64 v[16:19], v0 offset0:24 offset1:200
	ds_load_2addr_b64 v[0:3], v1 offset0:32 offset1:208
	;; [unrolled: 1-line block ×3, first 2 shown]
	s_and_saveexec_b32 s1, s0
	s_cbranch_execz .LBB0_13
; %bb.12:
	ds_load_b64 v[20:21], v88 offset:5632
	ds_load_b64 v[22:23], v88 offset:11968
.LBB0_13:
	s_wait_alu 0xfffe
	s_or_b32 exec_lo, exec_lo, s1
	v_and_b32_e32 v93, 7, v89
	s_delay_alu instid0(VALU_DEP_1)
	v_lshlrev_b32_e32 v26, 3, v93
	global_load_b64 v[84:85], v26, s[2:3] offset:32
	global_wb scope:SCOPE_SE
	s_wait_loadcnt_dscnt 0x0
	s_barrier_signal -1
	s_barrier_wait -1
	global_inv scope:SCOPE_SE
	v_mul_f32_e32 v31, v14, v85
	v_mul_f32_e32 v28, v18, v85
	;; [unrolled: 1-line block ×5, first 2 shown]
	v_fmac_f32_e32 v31, v15, v84
	v_fmac_f32_e32 v28, v19, v84
	v_and_or_b32 v26, 0x1f0, v46, v93
	v_and_or_b32 v27, 0x3f0, v45, v93
	;; [unrolled: 1-line block ×4, first 2 shown]
	s_delay_alu instid0(VALU_DEP_4) | instskip(NEXT) | instid1(VALU_DEP_4)
	v_dual_fmac_f32 v29, v13, v84 :: v_dual_lshlrev_b32 v104, 3, v26
	v_lshlrev_b32_e32 v103, 3, v27
	s_delay_alu instid0(VALU_DEP_4) | instskip(NEXT) | instid1(VALU_DEP_4)
	v_dual_mul_f32 v27, v13, v85 :: v_dual_lshlrev_b32 v102, 3, v24
	v_lshlrev_b32_e32 v101, 3, v25
	v_mul_f32_e32 v24, v17, v85
	v_mul_f32_e32 v25, v16, v85
	;; [unrolled: 1-line block ×3, first 2 shown]
	v_fma_f32 v13, v14, v84, -v30
	v_fma_f32 v14, v22, v84, -v32
	v_mul_f32_e32 v33, v22, v85
	v_fma_f32 v16, v16, v84, -v24
	v_fmac_f32_e32 v25, v17, v84
	v_fma_f32 v17, v18, v84, -v26
	v_sub_f32_e32 v30, v20, v14
	v_fma_f32 v12, v12, v84, -v27
	v_fmac_f32_e32 v33, v23, v84
	v_sub_f32_e32 v26, v8, v16
	v_sub_f32_e32 v42, v10, v17
	;; [unrolled: 1-line block ×3, first 2 shown]
	v_dual_sub_f32 v43, v11, v28 :: v_dual_sub_f32 v34, v2, v13
	v_dual_sub_f32 v38, v0, v12 :: v_dual_sub_f32 v39, v1, v29
	v_sub_f32_e32 v35, v3, v31
	v_sub_f32_e32 v31, v21, v33
	v_fma_f32 v24, v8, 2.0, -v26
	v_fma_f32 v25, v9, 2.0, -v27
	;; [unrolled: 1-line block ×10, first 2 shown]
	ds_store_2addr_b64 v104, v[24:25], v[26:27] offset1:8
	ds_store_2addr_b64 v103, v[40:41], v[42:43] offset1:8
	;; [unrolled: 1-line block ×4, first 2 shown]
	s_and_saveexec_b32 s1, s0
	s_cbranch_execz .LBB0_15
; %bb.14:
	v_and_or_b32 v0, 0x7f0, v92, v93
	s_delay_alu instid0(VALU_DEP_1)
	v_lshlrev_b32_e32 v0, 3, v0
	ds_store_2addr_b64 v0, v[28:29], v[30:31] offset1:8
.LBB0_15:
	s_wait_alu 0xfffe
	s_or_b32 exec_lo, exec_lo, s1
	v_cmp_gt_u16_e64 s1, 0x90, v89
	global_wb scope:SCOPE_SE
	s_wait_dscnt 0x0
	s_barrier_signal -1
	s_barrier_wait -1
	global_inv scope:SCOPE_SE
	s_and_saveexec_b32 s10, s1
	s_cbranch_execz .LBB0_17
; %bb.16:
	v_add_nc_u32_e32 v0, 0x800, v88
	v_add_nc_u32_e32 v1, 0x1000, v88
	;; [unrolled: 1-line block ×4, first 2 shown]
	ds_load_2addr_b64 v[24:27], v88 offset1:144
	ds_load_2addr_b64 v[40:43], v0 offset0:32 offset1:176
	ds_load_2addr_b64 v[36:39], v1 offset0:64 offset1:208
	;; [unrolled: 1-line block ×3, first 2 shown]
	ds_load_2addr_b64 v[28:31], v3 offset1:144
	ds_load_b64 v[4:5], v88 offset:11520
.LBB0_17:
	s_wait_alu 0xfffe
	s_or_b32 exec_lo, exec_lo, s10
	v_and_b32_e32 v90, 15, v89
	s_delay_alu instid0(VALU_DEP_1)
	v_mad_co_u64_u32 v[20:21], null, 0x50, v90, s[2:3]
	s_clause 0x4
	global_load_b128 v[16:19], v[20:21], off offset:96
	global_load_b128 v[8:11], v[20:21], off offset:112
	;; [unrolled: 1-line block ×5, first 2 shown]
	global_wb scope:SCOPE_SE
	s_wait_loadcnt_dscnt 0x0
	s_barrier_signal -1
	s_barrier_wait -1
	global_inv scope:SCOPE_SE
	v_mul_f32_e32 v59, v41, v19
	v_mul_f32_e32 v57, v27, v17
	v_dual_mul_f32 v56, v26, v17 :: v_dual_mul_f32 v55, v40, v19
	v_dual_mul_f32 v54, v42, v9 :: v_dual_mul_f32 v53, v36, v11
	;; [unrolled: 1-line block ×4, first 2 shown]
	s_delay_alu instid0(VALU_DEP_4)
	v_dual_mul_f32 v47, v4, v23 :: v_dual_fmac_f32 v56, v27, v16
	v_dual_mul_f32 v60, v43, v9 :: v_dual_mul_f32 v61, v37, v11
	v_dual_mul_f32 v86, v39, v1 :: v_dual_mul_f32 v87, v33, v3
	;; [unrolled: 1-line block ×3, first 2 shown]
	v_fma_f32 v58, v26, v16, -v57
	v_fma_f32 v57, v40, v18, -v59
	v_dual_fmac_f32 v55, v41, v18 :: v_dual_fmac_f32 v54, v43, v8
	v_dual_fmac_f32 v47, v5, v22 :: v_dual_fmac_f32 v48, v31, v20
	v_fmac_f32_e32 v49, v29, v14
	v_fma_f32 v27, v30, v20, -v106
	v_dual_mul_f32 v52, v38, v1 :: v_dual_mul_f32 v51, v32, v3
	s_delay_alu instid0(VALU_DEP_4) | instskip(SKIP_2) | instid1(VALU_DEP_4)
	v_dual_mul_f32 v91, v35, v13 :: v_dual_sub_f32 v120, v56, v47
	v_fma_f32 v41, v42, v8, -v60
	v_fma_f32 v40, v36, v10, -v61
	v_dual_fmac_f32 v53, v37, v10 :: v_dual_fmac_f32 v52, v39, v0
	v_fma_f32 v37, v38, v0, -v86
	v_fma_f32 v36, v32, v2, -v87
	;; [unrolled: 1-line block ×4, first 2 shown]
	v_dual_sub_f32 v124, v55, v48 :: v_dual_sub_f32 v113, v57, v27
	v_dual_sub_f32 v126, v54, v49 :: v_dual_fmac_f32 v51, v33, v2
	v_fmac_f32_e32 v50, v35, v12
	v_fma_f32 v32, v34, v12, -v91
	v_dual_add_f32 v31, v56, v47 :: v_dual_add_f32 v34, v41, v28
	v_dual_sub_f32 v112, v58, v26 :: v_dual_sub_f32 v119, v37, v36
	v_mul_f32_e32 v114, 0x3e903f40, v126
	v_dual_sub_f32 v127, v53, v50 :: v_dual_mul_f32 v116, 0xbf68dda4, v120
	v_dual_add_f32 v29, v58, v26 :: v_dual_add_f32 v30, v57, v27
	s_delay_alu instid0(VALU_DEP_3) | instskip(SKIP_4) | instid1(VALU_DEP_4)
	v_fmamk_f32 v141, v34, 0xbf75a155, v114
	v_mul_f32_e32 v123, 0xbf68dda4, v112
	v_dual_add_f32 v35, v40, v32 :: v_dual_add_f32 v42, v53, v50
	v_dual_sub_f32 v121, v40, v32 :: v_dual_mul_f32 v122, 0xbf4178ce, v113
	v_mul_f32_e32 v125, 0x3f7d64f0, v127
	v_fma_f32 v138, 0x3ed4b147, v31, -v123
	v_mul_f32_e32 v109, 0xbf0a6770, v120
	v_dual_add_f32 v43, v52, v51 :: v_dual_mul_f32 v108, 0xbf68dda4, v124
	v_mul_f32_e32 v130, 0x3f7d64f0, v121
	v_fmamk_f32 v135, v29, 0x3ed4b147, v116
	v_fmamk_f32 v143, v35, 0xbe11bafb, v125
	v_dual_mul_f32 v115, 0xbf4178ce, v124 :: v_dual_add_f32 v138, v25, v138
	s_delay_alu instid0(VALU_DEP_3) | instskip(SKIP_2) | instid1(VALU_DEP_4)
	v_dual_fmamk_f32 v4, v29, 0x3f575c64, v109 :: v_dual_add_f32 v135, v24, v135
	v_mul_f32_e32 v61, 0xbf7d64f0, v126
	v_fmamk_f32 v86, v30, 0x3ed4b147, v108
	v_fmamk_f32 v139, v30, 0xbf27a4f4, v115
	v_mul_f32_e32 v111, 0xbf0a6770, v112
	v_add_f32_e32 v4, v24, v4
	v_dual_add_f32 v33, v55, v48 :: v_dual_add_f32 v38, v54, v49
	v_dual_sub_f32 v117, v41, v28 :: v_dual_mul_f32 v110, 0xbf68dda4, v113
	v_sub_f32_e32 v129, v52, v51
	s_delay_alu instid0(VALU_DEP_4)
	v_dual_mul_f32 v59, 0xbf4178ce, v127 :: v_dual_add_f32 v4, v86, v4
	v_add_f32_e32 v86, v139, v135
	v_fma_f32 v5, 0x3f575c64, v31, -v111
	v_dual_add_f32 v39, v37, v36 :: v_dual_mul_f32 v106, 0xbf7d64f0, v117
	v_mul_f32_e32 v128, 0x3e903f40, v117
	v_dual_mul_f32 v60, 0xbe903f40, v129 :: v_dual_mul_f32 v107, 0xbe903f40, v119
	v_fma_f32 v87, 0x3ed4b147, v33, -v110
	v_fma_f32 v140, 0xbf27a4f4, v33, -v122
	v_add_f32_e32 v5, v25, v5
	v_fma_f32 v132, 0xbe11bafb, v38, -v106
	v_fmamk_f32 v136, v39, 0xbf75a155, v60
	v_fma_f32 v142, 0xbf75a155, v38, -v128
	v_dual_mul_f32 v118, 0x3f0a6770, v129 :: v_dual_mul_f32 v131, 0x3f0a6770, v119
	v_add_f32_e32 v5, v87, v5
	v_add_f32_e32 v87, v140, v138
	v_fmamk_f32 v133, v35, 0xbf27a4f4, v59
	v_fmamk_f32 v91, v34, 0xbe11bafb, v61
	v_mul_f32_e32 v105, 0xbf4178ce, v121
	v_fma_f32 v144, 0xbe11bafb, v42, -v130
	v_dual_add_f32 v5, v132, v5 :: v_dual_add_f32 v86, v141, v86
	s_delay_alu instid0(VALU_DEP_4) | instskip(NEXT) | instid1(VALU_DEP_4)
	v_add_f32_e32 v4, v91, v4
	v_fma_f32 v134, 0xbf27a4f4, v42, -v105
	v_add_f32_e32 v87, v142, v87
	v_fma_f32 v137, 0xbf75a155, v43, -v107
	v_fmamk_f32 v135, v39, 0x3f575c64, v118
	v_fma_f32 v91, 0x3f575c64, v43, -v131
	v_dual_add_f32 v4, v133, v4 :: v_dual_add_f32 v5, v134, v5
	v_dual_add_f32 v132, v143, v86 :: v_dual_add_f32 v133, v144, v87
	s_delay_alu instid0(VALU_DEP_2) | instskip(NEXT) | instid1(VALU_DEP_2)
	v_dual_add_f32 v86, v136, v4 :: v_dual_add_f32 v87, v137, v5
	v_add_f32_e32 v4, v135, v132
	s_delay_alu instid0(VALU_DEP_3)
	v_add_f32_e32 v5, v91, v133
	v_lshrrev_b32_e32 v91, 4, v89
	s_and_saveexec_b32 s10, s1
	s_cbranch_execz .LBB0_19
; %bb.18:
	v_dual_mul_f32 v145, 0xbe11bafb, v34 :: v_dual_mul_f32 v146, 0xbe11bafb, v31
	v_mul_f32_e32 v158, 0xbf7d64f0, v120
	v_dual_mul_f32 v148, 0xbf75a155, v34 :: v_dual_mul_f32 v151, 0xbf75a155, v33
	v_mul_f32_e32 v161, 0x3e903f40, v124
	s_delay_alu instid0(VALU_DEP_4) | instskip(NEXT) | instid1(VALU_DEP_4)
	v_fmamk_f32 v132, v112, 0x3f7d64f0, v146
	v_dual_fmamk_f32 v134, v29, 0xbe11bafb, v158 :: v_dual_mul_f32 v147, 0xbe11bafb, v38
	s_delay_alu instid0(VALU_DEP_4) | instskip(SKIP_1) | instid1(VALU_DEP_4)
	v_fmamk_f32 v133, v113, 0xbe903f40, v151
	v_mul_f32_e32 v176, 0xbf4178ce, v126
	v_add_f32_e32 v132, v25, v132
	s_delay_alu instid0(VALU_DEP_4) | instskip(SKIP_4) | instid1(VALU_DEP_4)
	v_add_f32_e32 v134, v24, v134
	v_mul_f32_e32 v155, 0x3ed4b147, v38
	v_mul_f32_e32 v164, 0xbf27a4f4, v43
	v_dual_mul_f32 v159, 0x3f575c64, v42 :: v_dual_mul_f32 v160, 0x3f575c64, v39
	v_dual_add_f32 v132, v133, v132 :: v_dual_fmamk_f32 v135, v30, 0xbf75a155, v161
	v_fmamk_f32 v133, v117, 0xbf68dda4, v155
	s_delay_alu instid0(VALU_DEP_4) | instskip(SKIP_3) | instid1(VALU_DEP_3)
	v_fmamk_f32 v136, v119, 0x3f4178ce, v164
	v_mul_f32_e32 v163, 0x3f68dda4, v126
	v_dual_mul_f32 v162, 0x3f575c64, v43 :: v_dual_mul_f32 v167, 0x3f575c64, v33
	v_dual_add_f32 v134, v135, v134 :: v_dual_mul_f32 v157, 0xbf75a155, v43
	v_dual_add_f32 v132, v133, v132 :: v_dual_fmamk_f32 v135, v34, 0x3ed4b147, v163
	v_fmamk_f32 v133, v121, 0x3f0a6770, v159
	v_mul_f32_e32 v165, 0xbf0a6770, v127
	v_mul_f32_e32 v173, 0x3f0a6770, v124
	;; [unrolled: 1-line block ×3, first 2 shown]
	v_add_f32_e32 v134, v135, v134
	v_dual_add_f32 v132, v133, v132 :: v_dual_mul_f32 v133, 0xbf75a155, v31
	v_dual_mul_f32 v139, 0x3ed4b147, v29 :: v_dual_mul_f32 v140, 0x3ed4b147, v31
	v_dual_mul_f32 v126, 0xbf0a6770, v126 :: v_dual_fmac_f32 v159, 0xbf0a6770, v121
	s_delay_alu instid0(VALU_DEP_3) | instskip(NEXT) | instid1(VALU_DEP_4)
	v_fmamk_f32 v166, v112, 0x3e903f40, v133
	v_add_f32_e32 v132, v136, v132
	v_fmac_f32_e32 v146, 0xbf7d64f0, v112
	v_dual_mul_f32 v137, 0x3f575c64, v29 :: v_dual_mul_f32 v138, 0x3f575c64, v31
	s_delay_alu instid0(VALU_DEP_4)
	v_add_f32_e32 v136, v25, v166
	v_fmamk_f32 v166, v113, 0xbf0a6770, v167
	v_fmamk_f32 v135, v35, 0x3f575c64, v165
	v_mul_f32_e32 v150, 0xbf27a4f4, v35
	v_dual_add_f32 v146, v25, v146 :: v_dual_fmac_f32 v155, 0x3f68dda4, v117
	v_fmamk_f32 v175, v30, 0x3f575c64, v173
	s_delay_alu instid0(VALU_DEP_4) | instskip(SKIP_4) | instid1(VALU_DEP_4)
	v_dual_add_f32 v169, v135, v134 :: v_dual_add_f32 v134, v166, v136
	v_mul_f32_e32 v135, 0xbe903f40, v120
	v_mul_f32_e32 v166, 0x3ed4b147, v42
	v_fmac_f32_e32 v167, 0x3f0a6770, v113
	v_dual_mul_f32 v153, 0xbe11bafb, v35 :: v_dual_mul_f32 v154, 0xbe11bafb, v42
	v_fmamk_f32 v172, v29, 0xbf75a155, v135
	v_dual_mul_f32 v143, 0xbf27a4f4, v30 :: v_dual_mul_f32 v144, 0xbf27a4f4, v33
	v_dual_mul_f32 v141, 0x3ed4b147, v30 :: v_dual_mul_f32 v142, 0x3ed4b147, v33
	s_delay_alu instid0(VALU_DEP_3) | instskip(SKIP_1) | instid1(VALU_DEP_4)
	v_dual_add_f32 v172, v24, v172 :: v_dual_mul_f32 v149, 0xbf75a155, v38
	v_mul_f32_e32 v156, 0xbf75a155, v39
	v_add_f32_e32 v122, v122, v144
	s_delay_alu instid0(VALU_DEP_4) | instskip(NEXT) | instid1(VALU_DEP_4)
	v_add_f32_e32 v110, v110, v142
	v_dual_add_f32 v172, v175, v172 :: v_dual_fmamk_f32 v175, v34, 0xbf27a4f4, v176
	v_fmac_f32_e32 v164, 0xbf4178ce, v119
	v_sub_f32_e32 v114, v148, v114
	v_sub_f32_e32 v108, v141, v108
	v_add_f32_e32 v58, v24, v58
	v_dual_add_f32 v172, v175, v172 :: v_dual_mul_f32 v175, 0xbf7d64f0, v129
	v_mul_f32_e32 v168, 0xbf27a4f4, v38
	v_dual_add_f32 v106, v106, v147 :: v_dual_fmac_f32 v151, 0x3e903f40, v113
	v_dual_sub_f32 v109, v137, v109 :: v_dual_sub_f32 v116, v139, v116
	s_delay_alu instid0(VALU_DEP_3) | instskip(NEXT) | instid1(VALU_DEP_2)
	v_dual_fmamk_f32 v136, v117, 0x3f4178ce, v168 :: v_dual_sub_f32 v115, v143, v115
	v_dual_add_f32 v146, v151, v146 :: v_dual_add_f32 v109, v24, v109
	s_delay_alu instid0(VALU_DEP_3) | instskip(NEXT) | instid1(VALU_DEP_3)
	v_add_f32_e32 v116, v24, v116
	v_add_f32_e32 v134, v136, v134
	v_fmamk_f32 v136, v121, 0xbf68dda4, v166
	v_fma_f32 v135, 0xbf75a155, v29, -v135
	v_fmac_f32_e32 v166, 0x3f68dda4, v121
	v_add_f32_e32 v146, v155, v146
	v_mul_f32_e32 v120, 0xbf4178ce, v120
	v_add_f32_e32 v134, v136, v134
	v_fmamk_f32 v136, v119, 0x3f7d64f0, v174
	v_fmac_f32_e32 v133, 0xbe903f40, v112
	v_add_f32_e32 v135, v24, v135
	v_fma_f32 v173, 0x3f575c64, v30, -v173
	v_mul_f32_e32 v170, 0xbf4178ce, v129
	s_delay_alu instid0(VALU_DEP_4) | instskip(SKIP_1) | instid1(VALU_DEP_4)
	v_dual_add_f32 v134, v136, v134 :: v_dual_add_f32 v133, v25, v133
	v_dual_mul_f32 v136, 0x3f68dda4, v127 :: v_dual_mul_f32 v129, 0x3f68dda4, v129
	v_add_f32_e32 v135, v173, v135
	v_mul_f32_e32 v173, 0xbf4178ce, v112
	s_delay_alu instid0(VALU_DEP_4) | instskip(NEXT) | instid1(VALU_DEP_4)
	v_add_f32_e32 v133, v167, v133
	v_fmamk_f32 v167, v35, 0x3ed4b147, v136
	v_fmac_f32_e32 v174, 0xbf7d64f0, v119
	v_mul_f32_e32 v127, 0xbe903f40, v127
	v_dual_mul_f32 v152, 0xbf27a4f4, v42 :: v_dual_fmamk_f32 v171, v39, 0xbf27a4f4, v170
	s_delay_alu instid0(VALU_DEP_4)
	v_dual_add_f32 v167, v167, v172 :: v_dual_fmac_f32 v168, 0xbf4178ce, v117
	v_fmamk_f32 v172, v39, 0xbe11bafb, v175
	v_add_f32_e32 v115, v115, v116
	v_add_f32_e32 v111, v111, v138
	;; [unrolled: 1-line block ×4, first 2 shown]
	v_fma_f32 v168, 0xbf27a4f4, v34, -v176
	v_dual_add_f32 v114, v114, v115 :: v_dual_sub_f32 v115, v153, v125
	v_add_f32_e32 v58, v105, v152
	v_add_f32_e32 v111, v25, v111
	s_delay_alu instid0(VALU_DEP_4) | instskip(SKIP_2) | instid1(VALU_DEP_2)
	v_add_f32_e32 v135, v168, v135
	v_fma_f32 v168, 0x3ed4b147, v35, -v136
	v_add_f32_e32 v41, v57, v41
	v_add_f32_e32 v135, v168, v135
	v_fma_f32 v168, 0xbe11bafb, v39, -v175
	v_mul_f32_e32 v175, 0xbe903f40, v121
	v_add_f32_e32 v121, v123, v140
	v_dual_mul_f32 v124, 0x3f7d64f0, v124 :: v_dual_add_f32 v123, v159, v146
	s_delay_alu instid0(VALU_DEP_4) | instskip(NEXT) | instid1(VALU_DEP_3)
	v_dual_add_f32 v135, v168, v135 :: v_dual_add_f32 v166, v166, v133
	v_add_f32_e32 v121, v25, v121
	v_add_f32_e32 v133, v172, v167
	v_mul_f32_e32 v167, 0x3f7d64f0, v113
	v_fma_f32 v168, 0xbf27a4f4, v29, -v120
	v_add_f32_e32 v136, v174, v166
	v_fmamk_f32 v166, v31, 0xbf27a4f4, v173
	v_fma_f32 v176, 0xbe11bafb, v30, -v124
	v_fmamk_f32 v172, v33, 0xbe11bafb, v167
	v_add_f32_e32 v168, v24, v168
	v_fma_f32 v140, 0xbf75a155, v30, -v161
	v_add_f32_e32 v166, v25, v166
	v_mul_f32_e32 v174, 0xbf0a6770, v117
	v_fmamk_f32 v112, v42, 0xbf75a155, v175
	v_add_f32_e32 v168, v176, v168
	v_mul_f32_e32 v176, 0x3f68dda4, v119
	v_add_f32_e32 v166, v172, v166
	v_fmamk_f32 v172, v38, 0x3f575c64, v174
	v_add_f32_e32 v121, v122, v121
	s_delay_alu instid0(VALU_DEP_4) | instskip(SKIP_1) | instid1(VALU_DEP_4)
	v_dual_add_f32 v122, v128, v149 :: v_dual_fmamk_f32 v117, v43, 0x3ed4b147, v176
	v_fma_f32 v31, 0xbf27a4f4, v31, -v173
	v_add_f32_e32 v166, v172, v166
	v_fma_f32 v172, 0x3f575c64, v34, -v126
	s_delay_alu instid0(VALU_DEP_4)
	v_add_f32_e32 v121, v122, v121
	v_add_f32_e32 v108, v108, v109
	;; [unrolled: 1-line block ×5, first 2 shown]
	v_fma_f32 v168, 0xbf75a155, v35, -v127
	v_sub_f32_e32 v115, v160, v118
	v_dual_add_f32 v122, v130, v154 :: v_dual_fmac_f32 v127, 0xbf75a155, v35
	v_fma_f32 v166, 0x3ed4b147, v39, -v129
	s_delay_alu instid0(VALU_DEP_4)
	v_add_f32_e32 v151, v168, v113
	v_add_f32_e32 v113, v117, v112
	v_fma_f32 v117, 0xbe11bafb, v29, -v158
	v_fmac_f32_e32 v120, 0xbf27a4f4, v29
	v_add_f32_e32 v121, v122, v121
	v_add_f32_e32 v112, v166, v151
	s_delay_alu instid0(VALU_DEP_4)
	v_dual_fmac_f32 v124, 0xbe11bafb, v30 :: v_dual_add_f32 v119, v24, v117
	v_add_f32_e32 v117, v164, v123
	v_fma_f32 v123, 0x3ed4b147, v34, -v163
	v_fmac_f32_e32 v126, 0x3f575c64, v34
	v_dual_add_f32 v40, v41, v40 :: v_dual_fmac_f32 v129, 0x3ed4b147, v39
	v_add_f32_e32 v119, v140, v119
	s_delay_alu instid0(VALU_DEP_2) | instskip(NEXT) | instid1(VALU_DEP_2)
	v_add_f32_e32 v37, v40, v37
	v_add_f32_e32 v119, v123, v119
	v_fma_f32 v123, 0x3f575c64, v35, -v165
	s_delay_alu instid0(VALU_DEP_1) | instskip(SKIP_1) | instid1(VALU_DEP_2)
	v_dual_add_f32 v29, v37, v36 :: v_dual_add_f32 v116, v123, v119
	v_fma_f32 v119, 0xbf27a4f4, v39, -v170
	v_add_f32_e32 v29, v29, v32
	v_add_f32_e32 v24, v24, v120
	s_delay_alu instid0(VALU_DEP_3) | instskip(SKIP_3) | instid1(VALU_DEP_3)
	v_add_f32_e32 v116, v119, v116
	v_add_f32_e32 v119, v25, v56
	;; [unrolled: 1-line block ×3, first 2 shown]
	v_fma_f32 v31, 0xbe11bafb, v33, -v167
	v_dual_add_f32 v28, v29, v28 :: v_dual_add_f32 v55, v119, v55
	s_delay_alu instid0(VALU_DEP_2) | instskip(SKIP_1) | instid1(VALU_DEP_3)
	v_add_f32_e32 v30, v31, v25
	v_fma_f32 v31, 0x3f575c64, v38, -v174
	v_dual_add_f32 v27, v28, v27 :: v_dual_add_f32 v54, v55, v54
	v_dual_add_f32 v55, v110, v111 :: v_dual_add_f32 v122, v131, v162
	s_delay_alu instid0(VALU_DEP_3) | instskip(SKIP_1) | instid1(VALU_DEP_4)
	v_add_f32_e32 v29, v31, v30
	v_fma_f32 v30, 0xbf75a155, v42, -v175
	v_add_f32_e32 v53, v54, v53
	s_delay_alu instid0(VALU_DEP_4) | instskip(SKIP_1) | instid1(VALU_DEP_3)
	v_dual_add_f32 v55, v106, v55 :: v_dual_sub_f32 v54, v145, v61
	v_dual_add_f32 v131, v171, v169 :: v_dual_add_f32 v24, v124, v24
	v_add_f32_e32 v52, v53, v52
	v_add_f32_e32 v56, v122, v121
	v_mul_u32_u24_e32 v31, 0xb0, v91
	v_add_f32_e32 v28, v30, v29
	s_delay_alu instid0(VALU_DEP_4)
	v_dual_add_f32 v24, v126, v24 :: v_dual_add_f32 v51, v52, v51
	v_fma_f32 v30, 0x3ed4b147, v43, -v176
	v_add_f32_e32 v53, v54, v108
	v_sub_f32_e32 v54, v150, v59
	v_or_b32_e32 v29, v31, v90
	v_add_f32_e32 v31, v127, v24
	v_add_f32_e32 v50, v51, v50
	v_dual_add_f32 v24, v27, v26 :: v_dual_add_f32 v27, v30, v28
	v_add_f32_e32 v55, v58, v55
	v_add_f32_e32 v53, v54, v53
	s_delay_alu instid0(VALU_DEP_4) | instskip(SKIP_1) | instid1(VALU_DEP_2)
	v_dual_add_f32 v49, v50, v49 :: v_dual_sub_f32 v54, v156, v60
	v_dual_add_f32 v26, v129, v31 :: v_dual_lshlrev_b32 v29, 3, v29
	v_dual_add_f32 v33, v49, v48 :: v_dual_add_f32 v52, v107, v157
	s_delay_alu instid0(VALU_DEP_1) | instskip(NEXT) | instid1(VALU_DEP_2)
	v_dual_add_f32 v40, v54, v53 :: v_dual_add_f32 v25, v33, v47
	v_add_f32_e32 v41, v52, v55
	v_add_f32_e32 v55, v115, v114
	ds_store_2addr_b64 v29, v[24:25], v[40:41] offset1:16
	ds_store_2addr_b64 v29, v[55:56], v[116:117] offset0:32 offset1:48
	ds_store_2addr_b64 v29, v[112:113], v[135:136] offset0:64 offset1:80
	;; [unrolled: 1-line block ×4, first 2 shown]
	ds_store_b64 v29, v[86:87] offset:1280
.LBB0_19:
	s_wait_alu 0xfffe
	s_or_b32 exec_lo, exec_lo, s10
	v_lshlrev_b32_e32 v52, 3, v46
	global_wb scope:SCOPE_SE
	s_wait_dscnt 0x0
	s_barrier_signal -1
	s_barrier_wait -1
	global_inv scope:SCOPE_SE
	global_load_b128 v[24:27], v52, s[2:3] offset:1376
	v_and_b32_e32 v28, 0xffff, v44
	v_add_nc_u32_e32 v125, 0x1e00, v88
	v_add_nc_u32_e32 v124, 0x1100, v88
	s_delay_alu instid0(VALU_DEP_3) | instskip(NEXT) | instid1(VALU_DEP_1)
	v_mul_u32_u24_e32 v28, 0xba2f, v28
	v_lshrrev_b32_e32 v28, 23, v28
	s_delay_alu instid0(VALU_DEP_1) | instskip(NEXT) | instid1(VALU_DEP_1)
	v_mul_lo_u16 v28, 0xb0, v28
	v_sub_nc_u16 v46, v44, v28
	s_delay_alu instid0(VALU_DEP_1) | instskip(NEXT) | instid1(VALU_DEP_1)
	v_lshlrev_b16 v28, 4, v46
	v_and_b32_e32 v28, 0xffff, v28
	s_delay_alu instid0(VALU_DEP_1)
	v_add_co_u32 v28, s10, s2, v28
	s_wait_alu 0xf1ff
	v_add_co_ci_u32_e64 v29, null, s3, 0, s10
	global_load_b128 v[28:31], v[28:29], off offset:1376
	v_add_nc_u32_e32 v53, 0xa00, v88
	v_add_nc_u32_e32 v54, 0x2000, v88
	;; [unrolled: 1-line block ×3, first 2 shown]
	ds_load_2addr_b64 v[32:35], v53 offset0:32 offset1:208
	ds_load_2addr_b64 v[36:39], v54 offset0:32 offset1:208
	;; [unrolled: 1-line block ×3, first 2 shown]
	s_wait_loadcnt_dscnt 0x101
	v_dual_mul_f32 v108, v38, v27 :: v_dual_lshlrev_b32 v55, 3, v45
	v_dual_mul_f32 v57, v34, v25 :: v_dual_and_b32 v46, 0xffff, v46
	v_dual_mul_f32 v45, v35, v25 :: v_dual_mul_f32 v58, v37, v27
	v_mul_f32_e32 v59, v36, v27
	s_delay_alu instid0(VALU_DEP_3)
	v_fmac_f32_e32 v57, v35, v24
	s_wait_dscnt 0x0
	v_dual_mul_f32 v60, v41, v25 :: v_dual_lshlrev_b32 v105, 3, v46
	ds_load_2addr_b64 v[46:49], v88 offset1:176
	ds_load_b64 v[50:51], v88 offset:11264
	v_mul_f32_e32 v61, v40, v25
	v_mul_f32_e32 v107, v39, v27
	v_fma_f32 v34, v34, v24, -v45
	v_fma_f32 v35, v36, v26, -v58
	v_dual_fmac_f32 v59, v37, v26 :: v_dual_add_nc_u32 v56, 0x2000, v105
	v_fma_f32 v36, v40, v24, -v60
	v_dual_fmac_f32 v61, v41, v24 :: v_dual_fmac_f32 v108, v39, v26
	v_fma_f32 v38, v38, v26, -v107
	v_add_f32_e32 v39, v34, v35
	v_sub_f32_e32 v41, v57, v59
	v_add_f32_e32 v45, v57, v59
	global_wb scope:SCOPE_SE
	s_wait_loadcnt_dscnt 0x0
	v_sub_f32_e32 v110, v36, v38
	v_add_f32_e32 v60, v36, v38
	s_barrier_signal -1
	s_barrier_wait -1
	v_dual_add_f32 v37, v46, v34 :: v_dual_add_f32 v40, v47, v57
	v_add_f32_e32 v58, v48, v36
	v_sub_f32_e32 v107, v61, v108
	v_add_f32_e32 v109, v49, v61
	v_fma_f32 v36, -0.5, v39, v46
	v_add_f32_e32 v61, v61, v108
	v_sub_f32_e32 v57, v34, v35
	v_add_f32_e32 v34, v37, v35
	v_add_f32_e32 v35, v40, v59
	v_fma_f32 v37, -0.5, v45, v47
	v_fmamk_f32 v40, v41, 0x3f5db3d7, v36
	v_fmac_f32_e32 v36, 0xbf5db3d7, v41
	v_dual_fmac_f32 v49, -0.5, v61 :: v_dual_add_f32 v38, v58, v38
	v_mul_f32_e32 v46, v43, v29
	v_mul_f32_e32 v47, v51, v31
	v_dual_mul_f32 v58, v50, v31 :: v_dual_fmamk_f32 v41, v57, 0xbf5db3d7, v37
	v_fmac_f32_e32 v37, 0x3f5db3d7, v57
	v_mul_f32_e32 v57, v42, v29
	v_fma_f32 v42, v42, v28, -v46
	v_fmamk_f32 v46, v110, 0xbf5db3d7, v49
	v_fma_f32 v47, v50, v30, -v47
	v_fma_f32 v48, -0.5, v60, v48
	v_fmac_f32_e32 v58, v51, v30
	v_dual_add_f32 v50, v32, v42 :: v_dual_fmac_f32 v57, v43, v28
	s_delay_alu instid0(VALU_DEP_4) | instskip(NEXT) | instid1(VALU_DEP_4)
	v_add_f32_e32 v43, v42, v47
	v_dual_fmamk_f32 v45, v107, 0x3f5db3d7, v48 :: v_dual_sub_f32 v60, v42, v47
	s_delay_alu instid0(VALU_DEP_3) | instskip(NEXT) | instid1(VALU_DEP_3)
	v_dual_add_f32 v42, v50, v47 :: v_dual_sub_f32 v59, v57, v58
	v_fma_f32 v32, -0.5, v43, v32
	v_add_f32_e32 v51, v57, v58
	v_add_f32_e32 v57, v33, v57
	v_dual_add_f32 v39, v109, v108 :: v_dual_fmac_f32 v48, 0xbf5db3d7, v107
	s_delay_alu instid0(VALU_DEP_4)
	v_fmamk_f32 v50, v59, 0x3f5db3d7, v32
	v_fmac_f32_e32 v32, 0xbf5db3d7, v59
	v_fmac_f32_e32 v33, -0.5, v51
	v_fmac_f32_e32 v49, 0x3f5db3d7, v110
	v_add_f32_e32 v43, v57, v58
	global_inv scope:SCOPE_SE
	v_fmamk_f32 v51, v60, 0xbf5db3d7, v33
	v_fmac_f32_e32 v33, 0x3f5db3d7, v60
	ds_store_2addr_b64 v88, v[34:35], v[40:41] offset1:176
	ds_store_2addr_b64 v53, v[36:37], v[38:39] offset0:32 offset1:208
	ds_store_2addr_b64 v106, v[45:46], v[48:49] offset0:64 offset1:240
	ds_store_2addr_b64 v56, v[42:43], v[50:51] offset0:32 offset1:208
	ds_store_b64 v105, v[32:33] offset:11264
	v_lshlrev_b32_e32 v32, 4, v44
	global_wb scope:SCOPE_SE
	s_wait_dscnt 0x0
	s_barrier_signal -1
	s_barrier_wait -1
	global_inv scope:SCOPE_SE
	s_clause 0x2
	global_load_b128 v[40:43], v52, s[2:3] offset:4192
	global_load_b128 v[36:39], v55, s[2:3] offset:4192
	;; [unrolled: 1-line block ×3, first 2 shown]
	ds_load_2addr_b64 v[44:47], v53 offset0:32 offset1:208
	ds_load_2addr_b64 v[48:51], v54 offset0:32 offset1:208
	;; [unrolled: 1-line block ×3, first 2 shown]
	ds_load_b64 v[60:61], v88 offset:11264
	ds_load_2addr_b64 v[56:59], v88 offset1:176
	s_add_nc_u64 s[2:3], s[16:17], 0x3180
	s_wait_loadcnt_dscnt 0x204
	v_mul_f32_e32 v108, v46, v41
	s_wait_loadcnt_dscnt 0x1
	v_mul_f32_e32 v118, v60, v35
	v_dual_mul_f32 v110, v48, v43 :: v_dual_mul_f32 v107, v47, v41
	v_dual_mul_f32 v112, v52, v37 :: v_dual_mul_f32 v113, v51, v39
	v_mul_f32_e32 v114, v50, v39
	v_dual_mul_f32 v109, v49, v43 :: v_dual_mul_f32 v116, v54, v33
	v_mul_f32_e32 v111, v53, v37
	v_dual_mul_f32 v115, v55, v33 :: v_dual_fmac_f32 v118, v61, v34
	v_fmac_f32_e32 v108, v47, v40
	v_fmac_f32_e32 v110, v49, v42
	v_mul_f32_e32 v117, v61, v35
	v_fma_f32 v46, v46, v40, -v107
	v_fmac_f32_e32 v112, v53, v36
	v_fma_f32 v50, v50, v38, -v113
	v_fmac_f32_e32 v114, v51, v38
	;; [unrolled: 2-line block ×3, first 2 shown]
	v_fma_f32 v48, v52, v36, -v111
	v_fma_f32 v49, v54, v32, -v115
	;; [unrolled: 1-line block ×3, first 2 shown]
	v_add_f32_e32 v60, v108, v110
	s_wait_dscnt 0x0
	v_dual_add_f32 v51, v56, v46 :: v_dual_add_f32 v54, v57, v108
	v_add_f32_e32 v53, v46, v47
	v_dual_sub_f32 v55, v108, v110 :: v_dual_add_f32 v120, v45, v116
	v_dual_add_f32 v108, v48, v50 :: v_dual_sub_f32 v61, v46, v47
	v_add_f32_e32 v107, v58, v48
	v_dual_sub_f32 v109, v112, v114 :: v_dual_add_f32 v46, v51, v47
	s_delay_alu instid0(VALU_DEP_3)
	v_fma_f32 v58, -0.5, v108, v58
	v_sub_f32_e32 v119, v116, v118
	v_add_f32_e32 v116, v116, v118
	v_add_f32_e32 v115, v44, v49
	v_sub_f32_e32 v113, v48, v50
	v_fma_f32 v48, -0.5, v53, v56
	v_dual_add_f32 v111, v59, v112 :: v_dual_add_f32 v112, v112, v114
	v_add_f32_e32 v117, v49, v52
	v_sub_f32_e32 v121, v49, v52
	v_fma_f32 v49, -0.5, v60, v57
	v_fmac_f32_e32 v45, -0.5, v116
	v_dual_fmac_f32 v59, -0.5, v112 :: v_dual_fmamk_f32 v56, v109, 0x3f5db3d7, v58
	v_dual_add_f32 v47, v54, v110 :: v_dual_fmamk_f32 v54, v55, 0x3f5db3d7, v48
	v_fma_f32 v44, -0.5, v117, v44
	v_dual_fmac_f32 v48, 0xbf5db3d7, v55 :: v_dual_fmamk_f32 v55, v61, 0xbf5db3d7, v49
	v_dual_fmac_f32 v49, 0x3f5db3d7, v61 :: v_dual_add_f32 v50, v107, v50
	v_add_f32_e32 v51, v111, v114
	v_add_f32_e32 v52, v115, v52
	v_dual_fmac_f32 v58, 0xbf5db3d7, v109 :: v_dual_fmamk_f32 v57, v113, 0xbf5db3d7, v59
	v_fmac_f32_e32 v59, 0x3f5db3d7, v113
	v_dual_add_f32 v53, v120, v118 :: v_dual_fmamk_f32 v60, v119, 0x3f5db3d7, v44
	v_dual_fmac_f32 v44, 0xbf5db3d7, v119 :: v_dual_fmamk_f32 v61, v121, 0xbf5db3d7, v45
	v_fmac_f32_e32 v45, 0x3f5db3d7, v121
	ds_store_b64 v88, v[54:55] offset:4224
	ds_store_b64 v88, v[48:49] offset:8448
	ds_store_2addr_b64 v88, v[46:47], v[50:51] offset1:176
	ds_store_b64 v88, v[58:59] offset:9856
	ds_store_b64 v88, v[52:53] offset:2816
	ds_store_2addr_b64 v106, v[56:57], v[60:61] offset0:64 offset1:240
	ds_store_b64 v88, v[44:45] offset:11264
	global_wb scope:SCOPE_SE
	s_wait_dscnt 0x0
	s_barrier_signal -1
	s_barrier_wait -1
	global_inv scope:SCOPE_SE
	s_clause 0x7
	global_load_b64 v[50:51], v[66:67], off offset:12672
	global_load_b64 v[52:53], v88, s[2:3] offset:4576
	global_load_b64 v[60:61], v88, s[2:3] offset:1408
	;; [unrolled: 1-line block ×7, first 2 shown]
	ds_load_2addr_b64 v[46:49], v88 offset1:176
	s_wait_loadcnt_dscnt 0x700
	v_dual_mul_f32 v54, v47, v51 :: v_dual_add_nc_u32 v55, 0x1800, v88
	v_mul_f32_e32 v57, v46, v51
	v_add_nc_u32_e32 v51, 0x500, v88
	s_delay_alu instid0(VALU_DEP_3) | instskip(NEXT) | instid1(VALU_DEP_3)
	v_fma_f32 v56, v46, v50, -v54
	v_dual_fmac_f32 v57, v47, v50 :: v_dual_add_nc_u32 v54, 0x2400, v88
	v_add_nc_u32_e32 v50, 0xc00, v88
	s_wait_loadcnt 0x5
	v_mul_f32_e32 v46, v49, v61
	v_mul_f32_e32 v47, v48, v61
	ds_store_b64 v88, v[56:57]
	ds_load_2addr_b64 v[56:59], v50 offset0:12 offset1:188
	ds_load_2addr_b64 v[106:109], v55 offset0:24 offset1:200
	;; [unrolled: 1-line block ×3, first 2 shown]
	v_fma_f32 v46, v48, v60, -v46
	v_fmac_f32_e32 v47, v49, v60
	s_wait_loadcnt_dscnt 0x402
	v_mul_f32_e32 v48, v57, v115
	s_wait_loadcnt_dscnt 0x301
	v_dual_mul_f32 v49, v56, v115 :: v_dual_mul_f32 v60, v107, v117
	v_mul_f32_e32 v61, v106, v117
	v_mul_f32_e32 v127, v59, v53
	s_wait_loadcnt_dscnt 0x200
	v_dual_mul_f32 v117, v58, v53 :: v_dual_mul_f32 v126, v111, v119
	v_mul_f32_e32 v115, v110, v119
	s_wait_loadcnt 0x0
	v_mul_f32_e32 v128, v109, v123
	v_mul_f32_e32 v53, v108, v123
	;; [unrolled: 1-line block ×4, first 2 shown]
	v_fma_f32 v48, v56, v114, -v48
	v_fmac_f32_e32 v49, v57, v114
	v_fma_f32 v60, v106, v116, -v60
	v_fmac_f32_e32 v61, v107, v116
	v_fma_f32 v116, v58, v52, -v127
	v_fmac_f32_e32 v117, v59, v52
	v_fma_f32 v114, v110, v118, -v126
	v_fmac_f32_e32 v115, v111, v118
	v_fma_f32 v52, v108, v122, -v128
	v_fmac_f32_e32 v53, v109, v122
	v_fma_f32 v118, v112, v120, -v123
	v_fmac_f32_e32 v119, v113, v120
	ds_store_2addr_b64 v51, v[46:47], v[48:49] offset0:16 offset1:236
	ds_store_2addr_b64 v124, v[116:117], v[60:61] offset0:28 offset1:248
	;; [unrolled: 1-line block ×3, first 2 shown]
	ds_store_b64 v88, v[118:119] offset:10912
	s_and_saveexec_b32 s10, vcc_lo
	s_cbranch_execz .LBB0_21
; %bb.20:
	s_wait_alu 0xfffe
	v_add_co_u32 v46, s2, s2, v88
	s_wait_alu 0xf1ff
	v_add_co_ci_u32_e64 v47, null, s3, 0, s2
	s_clause 0x3
	global_load_b64 v[48:49], v[46:47], off offset:2816
	global_load_b64 v[51:52], v[46:47], off offset:5984
	;; [unrolled: 1-line block ×4, first 2 shown]
	ds_load_b64 v[58:59], v88 offset:2816
	ds_load_b64 v[60:61], v88 offset:5984
	;; [unrolled: 1-line block ×4, first 2 shown]
	s_wait_loadcnt_dscnt 0x303
	v_mul_f32_e32 v110, v59, v49
	s_wait_loadcnt_dscnt 0x202
	v_dual_mul_f32 v53, v58, v49 :: v_dual_mul_f32 v112, v61, v52
	v_mul_f32_e32 v49, v60, v52
	s_wait_loadcnt_dscnt 0x0
	v_dual_mul_f32 v113, v107, v57 :: v_dual_mul_f32 v114, v109, v47
	v_mul_f32_e32 v111, v106, v57
	v_mul_f32_e32 v57, v108, v47
	v_fma_f32 v52, v58, v48, -v110
	v_fmac_f32_e32 v53, v59, v48
	v_fma_f32 v48, v60, v51, -v112
	v_fmac_f32_e32 v49, v61, v51
	v_fma_f32 v110, v106, v56, -v113
	v_fmac_f32_e32 v111, v107, v56
	v_fma_f32 v56, v108, v46, -v114
	v_fmac_f32_e32 v57, v109, v46
	ds_store_b64 v88, v[52:53] offset:2816
	ds_store_b64 v88, v[48:49] offset:5984
	;; [unrolled: 1-line block ×4, first 2 shown]
.LBB0_21:
	s_wait_alu 0xfffe
	s_or_b32 exec_lo, exec_lo, s10
	global_wb scope:SCOPE_SE
	s_wait_dscnt 0x0
	s_barrier_signal -1
	s_barrier_wait -1
	global_inv scope:SCOPE_SE
	ds_load_2addr_b64 v[46:49], v88 offset1:176
	ds_load_2addr_b64 v[50:53], v50 offset0:12 offset1:188
	ds_load_2addr_b64 v[58:61], v55 offset0:24 offset1:200
	;; [unrolled: 1-line block ×3, first 2 shown]
	s_and_saveexec_b32 s2, vcc_lo
	s_cbranch_execz .LBB0_23
; %bb.22:
	ds_load_b64 v[44:45], v88 offset:2816
	ds_load_b64 v[4:5], v88 offset:5984
	ds_load_b64 v[86:87], v88 offset:9152
	ds_load_b64 v[6:7], v88 offset:12320
.LBB0_23:
	s_wait_alu 0xfffe
	s_or_b32 exec_lo, exec_lo, s2
	s_wait_dscnt 0x1
	v_dual_sub_f32 v106, v46, v58 :: v_dual_sub_f32 v59, v47, v59
	s_wait_dscnt 0x0
	v_dual_sub_f32 v58, v50, v54 :: v_dual_sub_f32 v107, v51, v55
	v_dual_sub_f32 v108, v48, v60 :: v_dual_sub_f32 v109, v49, v61
	s_delay_alu instid0(VALU_DEP_3) | instskip(NEXT) | instid1(VALU_DEP_3)
	v_fma_f32 v46, v46, 2.0, -v106
	v_fma_f32 v50, v50, 2.0, -v58
	;; [unrolled: 1-line block ×4, first 2 shown]
	v_dual_sub_f32 v61, v52, v56 :: v_dual_sub_f32 v60, v53, v57
	s_delay_alu instid0(VALU_DEP_4) | instskip(SKIP_1) | instid1(VALU_DEP_4)
	v_sub_f32_e32 v54, v46, v50
	v_fma_f32 v110, v48, 2.0, -v108
	v_sub_f32_e32 v55, v47, v51
	v_dual_add_f32 v56, v106, v107 :: v_dual_sub_f32 v57, v59, v58
	s_delay_alu instid0(VALU_DEP_4)
	v_fma_f32 v48, v46, 2.0, -v54
	v_fma_f32 v46, v52, 2.0, -v61
	;; [unrolled: 1-line block ×5, first 2 shown]
	v_dual_sub_f32 v6, v4, v6 :: v_dual_sub_f32 v7, v5, v7
	s_delay_alu instid0(VALU_DEP_3) | instskip(SKIP_2) | instid1(VALU_DEP_3)
	v_dual_sub_f32 v58, v110, v46 :: v_dual_sub_f32 v59, v52, v53
	v_dual_sub_f32 v53, v44, v86 :: v_dual_sub_f32 v86, v45, v87
	v_fma_f32 v50, v106, 2.0, -v56
	v_fma_f32 v106, v110, 2.0, -v58
	v_fma_f32 v4, v4, 2.0, -v6
	s_delay_alu instid0(VALU_DEP_4) | instskip(SKIP_4) | instid1(VALU_DEP_3)
	v_fma_f32 v87, v44, 2.0, -v53
	v_fma_f32 v110, v45, 2.0, -v86
	;; [unrolled: 1-line block ×4, first 2 shown]
	v_dual_add_f32 v46, v7, v53 :: v_dual_sub_f32 v47, v86, v6
	v_dual_sub_f32 v44, v87, v4 :: v_dual_sub_f32 v45, v110, v5
	v_dual_add_f32 v60, v108, v60 :: v_dual_sub_f32 v61, v109, v61
	s_delay_alu instid0(VALU_DEP_3) | instskip(NEXT) | instid1(VALU_DEP_3)
	v_fma_f32 v6, v53, 2.0, -v46
	v_fma_f32 v4, v87, 2.0, -v44
	s_delay_alu instid0(VALU_DEP_4)
	v_fma_f32 v5, v110, 2.0, -v45
	v_fma_f32 v7, v86, 2.0, -v47
	;; [unrolled: 1-line block ×5, first 2 shown]
	global_wb scope:SCOPE_SE
	s_barrier_signal -1
	s_barrier_wait -1
	global_inv scope:SCOPE_SE
	ds_store_b128 v95, v[48:51]
	ds_store_b128 v95, v[54:57] offset:16
	ds_store_b128 v96, v[106:109]
	ds_store_b128 v96, v[58:61] offset:16
	s_and_saveexec_b32 s2, vcc_lo
	s_cbranch_execz .LBB0_25
; %bb.24:
	ds_store_b128 v94, v[4:7]
	ds_store_b128 v94, v[44:47] offset:16
.LBB0_25:
	s_wait_alu 0xfffe
	s_or_b32 exec_lo, exec_lo, s2
	v_add_nc_u32_e32 v46, 0x1800, v88
	v_add_nc_u32_e32 v47, 0xa00, v88
	;; [unrolled: 1-line block ×3, first 2 shown]
	global_wb scope:SCOPE_SE
	s_wait_dscnt 0x0
	s_barrier_signal -1
	s_barrier_wait -1
	global_inv scope:SCOPE_SE
	ds_load_2addr_b64 v[50:53], v88 offset1:176
	ds_load_2addr_b64 v[58:61], v46 offset0:24 offset1:200
	ds_load_2addr_b64 v[46:49], v47 offset0:32 offset1:208
	;; [unrolled: 1-line block ×3, first 2 shown]
	s_and_saveexec_b32 s2, s0
	s_cbranch_execz .LBB0_27
; %bb.26:
	ds_load_b64 v[4:5], v88 offset:5632
	ds_load_b64 v[6:7], v88 offset:11968
.LBB0_27:
	s_wait_alu 0xfffe
	s_or_b32 exec_lo, exec_lo, s2
	s_wait_dscnt 0x2
	v_mul_f32_e32 v86, v63, v59
	v_mul_f32_e32 v94, v63, v61
	v_mul_f32_e32 v87, v63, v58
	v_mul_f32_e32 v95, v63, v60
	s_wait_dscnt 0x0
	v_mul_f32_e32 v96, v63, v55
	v_fmac_f32_e32 v86, v62, v58
	v_fmac_f32_e32 v94, v62, v60
	v_fma_f32 v58, v62, v59, -v87
	v_fma_f32 v59, v62, v61, -v95
	v_mul_f32_e32 v60, v63, v54
	v_dual_fmac_f32 v96, v62, v54 :: v_dual_mul_f32 v87, v63, v57
	v_mul_f32_e32 v54, v63, v56
	v_mul_f32_e32 v95, v63, v7
	s_delay_alu instid0(VALU_DEP_4) | instskip(NEXT) | instid1(VALU_DEP_4)
	v_fma_f32 v61, v62, v55, -v60
	v_dual_mul_f32 v55, v63, v6 :: v_dual_sub_f32 v60, v46, v96
	v_fmac_f32_e32 v87, v62, v56
	v_fma_f32 v56, v62, v57, -v54
	v_fmac_f32_e32 v95, v62, v6
	s_delay_alu instid0(VALU_DEP_4) | instskip(SKIP_2) | instid1(VALU_DEP_4)
	v_fma_f32 v57, v62, v7, -v55
	v_sub_f32_e32 v6, v50, v86
	v_dual_sub_f32 v7, v51, v58 :: v_dual_sub_f32 v62, v48, v87
	v_dual_sub_f32 v63, v49, v56 :: v_dual_sub_f32 v56, v4, v95
	s_delay_alu instid0(VALU_DEP_4)
	v_dual_sub_f32 v57, v5, v57 :: v_dual_sub_f32 v54, v52, v94
	v_sub_f32_e32 v61, v47, v61
	v_sub_f32_e32 v55, v53, v59
	v_fma_f32 v50, v50, 2.0, -v6
	v_fma_f32 v51, v51, 2.0, -v7
	;; [unrolled: 1-line block ×10, first 2 shown]
	global_wb scope:SCOPE_SE
	s_barrier_signal -1
	s_barrier_wait -1
	global_inv scope:SCOPE_SE
	ds_store_2addr_b64 v100, v[50:51], v[6:7] offset1:4
	ds_store_2addr_b64 v99, v[52:53], v[54:55] offset1:4
	;; [unrolled: 1-line block ×4, first 2 shown]
	s_and_saveexec_b32 s2, s0
	s_cbranch_execz .LBB0_29
; %bb.28:
	v_and_or_b32 v4, 0x7f8, v92, v64
	s_delay_alu instid0(VALU_DEP_1)
	v_lshlrev_b32_e32 v4, 3, v4
	ds_store_2addr_b64 v4, v[58:59], v[56:57] offset1:4
.LBB0_29:
	s_wait_alu 0xfffe
	s_or_b32 exec_lo, exec_lo, s2
	v_add_nc_u32_e32 v4, 0x1800, v88
	v_add_nc_u32_e32 v5, 0xa00, v88
	;; [unrolled: 1-line block ×3, first 2 shown]
	global_wb scope:SCOPE_SE
	s_wait_dscnt 0x0
	s_barrier_signal -1
	s_barrier_wait -1
	global_inv scope:SCOPE_SE
	ds_load_2addr_b64 v[48:51], v88 offset1:176
	ds_load_2addr_b64 v[52:55], v4 offset0:24 offset1:200
	ds_load_2addr_b64 v[61:64], v5 offset0:32 offset1:208
	;; [unrolled: 1-line block ×3, first 2 shown]
	s_and_saveexec_b32 s2, s0
	s_cbranch_execz .LBB0_31
; %bb.30:
	ds_load_b64 v[58:59], v88 offset:5632
	ds_load_b64 v[56:57], v88 offset:11968
.LBB0_31:
	s_wait_alu 0xfffe
	s_or_b32 exec_lo, exec_lo, s2
	s_wait_dscnt 0x2
	v_mul_f32_e32 v60, v85, v55
	v_mul_f32_e32 v47, v85, v52
	s_wait_dscnt 0x0
	v_mul_f32_e32 v87, v85, v5
	v_mul_f32_e32 v46, v85, v53
	;; [unrolled: 1-line block ×3, first 2 shown]
	v_fmac_f32_e32 v60, v84, v54
	v_fma_f32 v47, v84, v53, -v47
	v_fmac_f32_e32 v87, v84, v4
	v_mul_f32_e32 v53, v85, v4
	v_fmac_f32_e32 v46, v84, v52
	v_mul_f32_e32 v4, v85, v6
	v_fmac_f32_e32 v94, v84, v56
	global_wb scope:SCOPE_SE
	v_fma_f32 v53, v84, v5, -v53
	v_mul_f32_e32 v86, v85, v54
	v_mul_f32_e32 v5, v85, v56
	v_sub_f32_e32 v56, v50, v60
	s_barrier_signal -1
	s_barrier_wait -1
	v_fma_f32 v52, v84, v55, -v86
	v_mul_f32_e32 v86, v85, v7
	v_fma_f32 v85, v84, v7, -v4
	v_dual_sub_f32 v7, v49, v47 :: v_dual_sub_f32 v60, v58, v94
	v_fma_f32 v54, v50, 2.0, -v56
	s_delay_alu instid0(VALU_DEP_4)
	v_fmac_f32_e32 v86, v84, v6
	v_sub_f32_e32 v6, v48, v46
	v_fma_f32 v84, v84, v57, -v5
	v_sub_f32_e32 v57, v51, v52
	v_fma_f32 v5, v49, 2.0, -v7
	v_sub_f32_e32 v49, v62, v53
	v_sub_f32_e32 v53, v64, v85
	v_fma_f32 v4, v48, 2.0, -v6
	v_sub_f32_e32 v48, v61, v87
	v_sub_f32_e32 v52, v63, v86
	v_fma_f32 v55, v51, 2.0, -v57
	v_fma_f32 v47, v62, 2.0, -v49
	;; [unrolled: 1-line block ×4, first 2 shown]
	v_sub_f32_e32 v61, v59, v84
	v_fma_f32 v50, v63, 2.0, -v52
	v_fma_f32 v58, v58, 2.0, -v60
	global_inv scope:SCOPE_SE
	ds_store_2addr_b64 v104, v[4:5], v[6:7] offset1:8
	ds_store_2addr_b64 v103, v[54:55], v[56:57] offset1:8
	;; [unrolled: 1-line block ×4, first 2 shown]
	v_fma_f32 v59, v59, 2.0, -v61
	s_and_saveexec_b32 s2, s0
	s_cbranch_execz .LBB0_33
; %bb.32:
	v_and_or_b32 v62, 0x7f0, v92, v93
	s_delay_alu instid0(VALU_DEP_1)
	v_lshlrev_b32_e32 v62, 3, v62
	ds_store_2addr_b64 v62, v[58:59], v[60:61] offset1:8
.LBB0_33:
	s_wait_alu 0xfffe
	s_or_b32 exec_lo, exec_lo, s2
	global_wb scope:SCOPE_SE
	s_wait_dscnt 0x0
	s_barrier_signal -1
	s_barrier_wait -1
	global_inv scope:SCOPE_SE
	s_and_saveexec_b32 s0, s1
	s_cbranch_execz .LBB0_35
; %bb.34:
	v_add_nc_u32_e32 v44, 0x800, v88
	v_add_nc_u32_e32 v45, 0x1000, v88
	;; [unrolled: 1-line block ×4, first 2 shown]
	ds_load_2addr_b64 v[4:7], v88 offset1:144
	ds_load_2addr_b64 v[54:57], v44 offset0:32 offset1:176
	ds_load_2addr_b64 v[46:49], v45 offset0:64 offset1:208
	;; [unrolled: 1-line block ×3, first 2 shown]
	ds_load_2addr_b64 v[58:61], v58 offset1:144
	ds_load_b64 v[44:45], v88 offset:11520
.LBB0_35:
	s_wait_alu 0xfffe
	s_or_b32 exec_lo, exec_lo, s0
	global_wb scope:SCOPE_SE
	s_wait_dscnt 0x0
	s_barrier_signal -1
	s_barrier_wait -1
	global_inv scope:SCOPE_SE
	s_and_saveexec_b32 s0, s1
	s_cbranch_execz .LBB0_37
; %bb.36:
	v_mul_f32_e32 v64, v17, v7
	v_dual_mul_f32 v62, v23, v45 :: v_dual_mul_f32 v17, v17, v6
	v_dual_mul_f32 v84, v19, v55 :: v_dual_mul_f32 v63, v21, v61
	s_delay_alu instid0(VALU_DEP_3) | instskip(SKIP_1) | instid1(VALU_DEP_4)
	v_dual_mul_f32 v23, v23, v44 :: v_dual_fmac_f32 v64, v16, v6
	v_mul_f32_e32 v21, v21, v60
	v_dual_fmac_f32 v62, v22, v44 :: v_dual_mul_f32 v19, v19, v54
	s_delay_alu instid0(VALU_DEP_4) | instskip(NEXT) | instid1(VALU_DEP_4)
	v_dual_fmac_f32 v84, v18, v54 :: v_dual_fmac_f32 v63, v20, v60
	v_fma_f32 v6, v22, v45, -v23
	v_fma_f32 v22, v16, v7, -v17
	;; [unrolled: 1-line block ×4, first 2 shown]
	v_mul_f32_e32 v17, v15, v59
	v_mul_f32_e32 v15, v15, v58
	v_add_f32_e32 v23, v6, v22
	v_add_f32_e32 v92, v62, v64
	;; [unrolled: 1-line block ×3, first 2 shown]
	v_sub_f32_e32 v7, v84, v63
	v_sub_f32_e32 v44, v64, v62
	v_dual_fmac_f32 v17, v14, v58 :: v_dual_mul_f32 v58, v13, v53
	s_delay_alu instid0(VALU_DEP_3) | instskip(NEXT) | instid1(VALU_DEP_3)
	v_mul_f32_e32 v45, 0xbf68dda4, v7
	v_mul_f32_e32 v21, 0xbf0a6770, v44
	;; [unrolled: 1-line block ×3, first 2 shown]
	s_delay_alu instid0(VALU_DEP_4) | instskip(SKIP_3) | instid1(VALU_DEP_1)
	v_fmac_f32_e32 v58, v12, v52
	v_fma_f32 v15, v14, v59, -v15
	v_fmamk_f32 v19, v54, 0x3ed4b147, v45
	v_fmamk_f32 v18, v23, 0x3f575c64, v21
	v_dual_mul_f32 v125, 0x3f0a6770, v7 :: v_dual_add_f32 v18, v5, v18
	v_mul_f32_e32 v55, v9, v57
	s_delay_alu instid0(VALU_DEP_1) | instskip(SKIP_1) | instid1(VALU_DEP_4)
	v_fmac_f32_e32 v55, v8, v56
	v_dual_mul_f32 v9, v9, v56 :: v_dual_mul_f32 v56, v11, v47
	v_add_f32_e32 v18, v19, v18
	s_delay_alu instid0(VALU_DEP_2) | instskip(NEXT) | instid1(VALU_DEP_3)
	v_fma_f32 v57, v8, v57, -v9
	v_fmac_f32_e32 v56, v10, v46
	v_mul_f32_e32 v8, v13, v52
	v_sub_f32_e32 v60, v55, v17
	v_mul_f32_e32 v9, v11, v46
	s_delay_alu instid0(VALU_DEP_4) | instskip(NEXT) | instid1(VALU_DEP_4)
	v_dual_add_f32 v52, v15, v57 :: v_dual_sub_f32 v59, v56, v58
	v_fma_f32 v53, v12, v53, -v8
	s_delay_alu instid0(VALU_DEP_4) | instskip(NEXT) | instid1(VALU_DEP_4)
	v_mul_f32_e32 v46, 0xbf7d64f0, v60
	v_fma_f32 v47, v10, v47, -v9
	v_mul_f32_e32 v61, v1, v49
	v_mul_f32_e32 v1, v1, v48
	v_sub_f32_e32 v14, v57, v15
	v_dual_fmamk_f32 v8, v52, 0xbe11bafb, v46 :: v_dual_mul_f32 v85, v3, v51
	s_delay_alu instid0(VALU_DEP_4) | instskip(NEXT) | instid1(VALU_DEP_2)
	v_dual_mul_f32 v86, 0xbf4178ce, v59 :: v_dual_fmac_f32 v61, v0, v48
	v_dual_add_f32 v87, v53, v47 :: v_dual_add_f32 v8, v8, v18
	s_delay_alu instid0(VALU_DEP_3) | instskip(SKIP_1) | instid1(VALU_DEP_3)
	v_dual_fmac_f32 v85, v2, v50 :: v_dual_add_f32 v48, v63, v84
	v_sub_f32_e32 v11, v22, v6
	v_fmamk_f32 v9, v87, 0xbf27a4f4, v86
	v_dual_sub_f32 v13, v20, v16 :: v_dual_mul_f32 v96, 0xbf7d64f0, v14
	s_delay_alu instid0(VALU_DEP_3) | instskip(NEXT) | instid1(VALU_DEP_2)
	v_dual_sub_f32 v94, v61, v85 :: v_dual_mul_f32 v93, 0xbf0a6770, v11
	v_dual_mul_f32 v3, v3, v50 :: v_dual_mul_f32 v50, 0xbf68dda4, v13
	v_sub_f32_e32 v18, v47, v53
	v_fma_f32 v49, v0, v49, -v1
	s_delay_alu instid0(VALU_DEP_4) | instskip(NEXT) | instid1(VALU_DEP_4)
	v_fma_f32 v10, 0x3f575c64, v92, -v93
	v_fma_f32 v51, v2, v51, -v3
	;; [unrolled: 1-line block ×3, first 2 shown]
	v_add_f32_e32 v95, v17, v55
	v_dual_add_f32 v99, v58, v56 :: v_dual_mul_f32 v100, 0xbf4178ce, v18
	v_add_f32_e32 v0, v4, v10
	v_dual_mul_f32 v97, 0xbe903f40, v94 :: v_dual_add_f32 v98, v51, v49
	v_dual_mul_f32 v19, 0xbf68dda4, v44 :: v_dual_sub_f32 v102, v49, v51
	s_delay_alu instid0(VALU_DEP_3) | instskip(SKIP_1) | instid1(VALU_DEP_4)
	v_add_f32_e32 v0, v1, v0
	v_fma_f32 v1, 0xbe11bafb, v95, -v96
	v_dual_add_f32 v2, v9, v8 :: v_dual_fmamk_f32 v3, v98, 0xbf75a155, v97
	v_fma_f32 v8, 0xbf27a4f4, v99, -v100
	s_delay_alu instid0(VALU_DEP_3) | instskip(SKIP_1) | instid1(VALU_DEP_4)
	v_dual_fmamk_f32 v9, v23, 0x3ed4b147, v19 :: v_dual_add_f32 v0, v1, v0
	v_mul_f32_e32 v101, 0xbf4178ce, v7
	v_dual_add_f32 v1, v3, v2 :: v_dual_add_f32 v104, v85, v61
	s_delay_alu instid0(VALU_DEP_3) | instskip(NEXT) | instid1(VALU_DEP_3)
	v_add_f32_e32 v2, v5, v9
	v_dual_add_f32 v0, v8, v0 :: v_dual_fmamk_f32 v3, v54, 0xbf27a4f4, v101
	v_mul_f32_e32 v103, 0x3e903f40, v60
	v_mul_f32_e32 v106, 0xbe903f40, v102
	v_fmamk_f32 v10, v23, 0xbe11bafb, v112
	v_dual_mul_f32 v108, 0x3f7d64f0, v59 :: v_dual_mul_f32 v113, 0x3f7d64f0, v18
	s_delay_alu instid0(VALU_DEP_4)
	v_dual_add_f32 v2, v3, v2 :: v_dual_fmamk_f32 v3, v52, 0xbf75a155, v103
	v_mul_f32_e32 v107, 0xbf68dda4, v11
	v_fma_f32 v8, 0xbf75a155, v104, -v106
	v_mul_f32_e32 v109, 0xbf4178ce, v13
	v_dual_mul_f32 v110, 0x3e903f40, v14 :: v_dual_mul_f32 v119, 0x3e903f40, v13
	v_add_f32_e32 v2, v3, v2
	v_fma_f32 v9, 0x3ed4b147, v92, -v107
	v_dual_fmamk_f32 v3, v87, 0xbe11bafb, v108 :: v_dual_add_f32 v0, v8, v0
	v_mul_f32_e32 v111, 0x3f0a6770, v94
	v_mul_f32_e32 v118, 0xbf0a6770, v59
	s_delay_alu instid0(VALU_DEP_4) | instskip(SKIP_4) | instid1(VALU_DEP_4)
	v_add_f32_e32 v8, v4, v9
	v_fma_f32 v9, 0xbf27a4f4, v48, -v109
	v_add_f32_e32 v2, v3, v2
	v_fma_f32 v12, 0xbe11bafb, v99, -v113
	v_mul_f32_e32 v116, 0x3f0a6770, v102
	v_dual_fmamk_f32 v120, v87, 0x3f575c64, v118 :: v_dual_add_f32 v3, v9, v8
	v_fma_f32 v8, 0xbf75a155, v95, -v110
	v_mul_f32_e32 v114, 0x3e903f40, v7
	v_mul_f32_e32 v121, 0x3f68dda4, v14
	;; [unrolled: 1-line block ×4, first 2 shown]
	v_dual_add_f32 v8, v8, v3 :: v_dual_fmamk_f32 v9, v98, 0x3f575c64, v111
	v_mul_f32_e32 v134, 0xbf4178ce, v14
	s_delay_alu instid0(VALU_DEP_4) | instskip(NEXT) | instid1(VALU_DEP_4)
	v_fma_f32 v126, 0x3f575c64, v99, -v122
	v_fma_f32 v130, 0xbf75a155, v92, -v128
	s_delay_alu instid0(VALU_DEP_4)
	v_dual_add_f32 v8, v12, v8 :: v_dual_add_f32 v3, v9, v2
	v_dual_add_f32 v2, v5, v10 :: v_dual_fmamk_f32 v9, v54, 0xbf75a155, v114
	v_mul_f32_e32 v115, 0x3f68dda4, v60
	v_fma_f32 v10, 0x3f575c64, v104, -v116
	v_mul_f32_e32 v117, 0xbf7d64f0, v11
	v_mul_f32_e32 v127, 0xbf4178ce, v102
	s_delay_alu instid0(VALU_DEP_4) | instskip(SKIP_3) | instid1(VALU_DEP_4)
	v_dual_add_f32 v2, v9, v2 :: v_dual_fmamk_f32 v9, v52, 0x3ed4b147, v115
	v_dual_mul_f32 v131, 0x3f0a6770, v13 :: v_dual_add_f32 v130, v4, v130
	v_mul_f32_e32 v132, 0xbf7d64f0, v94
	v_fma_f32 v101, 0xbf27a4f4, v54, -v101
	v_dual_add_f32 v9, v9, v2 :: v_dual_add_f32 v2, v10, v8
	v_fma_f32 v12, 0xbe11bafb, v92, -v117
	v_fma_f32 v10, 0xbf75a155, v48, -v119
	;; [unrolled: 1-line block ×3, first 2 shown]
	s_delay_alu instid0(VALU_DEP_4) | instskip(NEXT) | instid1(VALU_DEP_4)
	v_dual_add_f32 v9, v120, v9 :: v_dual_mul_f32 v120, 0xbf4178ce, v94
	v_add_f32_e32 v8, v4, v12
	v_mul_f32_e32 v12, 0xbe903f40, v44
	s_delay_alu instid0(VALU_DEP_4) | instskip(NEXT) | instid1(VALU_DEP_4)
	v_dual_add_f32 v130, v133, v130 :: v_dual_fmac_f32 v131, 0x3f575c64, v48
	v_fmamk_f32 v123, v98, 0xbf27a4f4, v120
	s_delay_alu instid0(VALU_DEP_4)
	v_add_f32_e32 v8, v10, v8
	v_fma_f32 v10, 0x3ed4b147, v95, -v121
	v_fma_f32 v133, 0xbf27a4f4, v95, -v134
	v_fmamk_f32 v124, v23, 0xbf75a155, v12
	v_fma_f32 v19, 0x3ed4b147, v23, -v19
	v_fma_f32 v103, 0xbf75a155, v52, -v103
	v_add_f32_e32 v10, v10, v8
	s_delay_alu instid0(VALU_DEP_4) | instskip(SKIP_2) | instid1(VALU_DEP_4)
	v_dual_add_f32 v8, v123, v9 :: v_dual_add_f32 v9, v5, v124
	v_fmamk_f32 v123, v54, 0x3f575c64, v125
	v_mul_f32_e32 v124, 0xbf4178ce, v60
	v_add_f32_e32 v126, v126, v10
	v_fma_f32 v125, 0x3f575c64, v54, -v125
	v_mul_f32_e32 v135, 0x3f68dda4, v18
	s_delay_alu instid0(VALU_DEP_4) | instskip(SKIP_4) | instid1(VALU_DEP_4)
	v_dual_add_f32 v9, v123, v9 :: v_dual_fmamk_f32 v10, v52, 0xbf27a4f4, v124
	v_mul_f32_e32 v123, 0x3f68dda4, v59
	v_fmac_f32_e32 v96, 0xbe11bafb, v95
	v_fmac_f32_e32 v110, 0xbf75a155, v95
	v_add_f32_e32 v22, v22, v5
	v_dual_add_f32 v9, v10, v9 :: v_dual_fmamk_f32 v10, v87, 0x3ed4b147, v123
	v_fma_f32 v12, 0xbf75a155, v23, -v12
	v_fma_f32 v123, 0x3ed4b147, v87, -v123
	;; [unrolled: 1-line block ×4, first 2 shown]
	v_add_f32_e32 v9, v10, v9
	v_fmamk_f32 v10, v98, 0xbe11bafb, v132
	v_add_f32_e32 v12, v5, v12
	v_fma_f32 v46, 0xbe11bafb, v52, -v46
	v_fmac_f32_e32 v107, 0x3ed4b147, v92
	s_delay_alu instid0(VALU_DEP_4)
	v_dual_fmac_f32 v117, 0xbe11bafb, v92 :: v_dual_add_f32 v10, v10, v9
	v_add_f32_e32 v9, v133, v130
	v_add_f32_e32 v12, v125, v12
	v_fma_f32 v125, 0x3ed4b147, v99, -v135
	v_mul_f32_e32 v130, 0xbf7d64f0, v102
	v_mul_f32_e32 v133, 0x3f575c64, v52
	v_fmac_f32_e32 v135, 0x3ed4b147, v99
	s_delay_alu instid0(VALU_DEP_4) | instskip(SKIP_3) | instid1(VALU_DEP_3)
	v_dual_mul_f32 v102, 0x3f68dda4, v102 :: v_dual_add_f32 v9, v125, v9
	v_fma_f32 v124, 0xbf27a4f4, v52, -v124
	v_fma_f32 v125, 0xbe11bafb, v104, -v130
	v_dual_fmac_f32 v130, 0xbe11bafb, v104 :: v_dual_add_f32 v107, v4, v107
	v_dual_fmac_f32 v121, 0x3ed4b147, v95 :: v_dual_add_f32 v12, v124, v12
	s_delay_alu instid0(VALU_DEP_3)
	v_add_f32_e32 v9, v125, v9
	v_mul_f32_e32 v125, 0xbe11bafb, v54
	v_fmac_f32_e32 v119, 0xbf75a155, v48
	v_fmac_f32_e32 v109, 0xbf27a4f4, v48
	v_add_f32_e32 v12, v123, v12
	v_fma_f32 v123, 0xbe11bafb, v98, -v132
	v_fmamk_f32 v132, v7, 0xbf7d64f0, v125
	s_delay_alu instid0(VALU_DEP_4) | instskip(SKIP_1) | instid1(VALU_DEP_4)
	v_dual_fmac_f32 v128, 0xbf75a155, v92 :: v_dual_add_f32 v107, v109, v107
	v_fmac_f32_e32 v127, 0xbf27a4f4, v104
	v_add_f32_e32 v12, v123, v12
	v_fmac_f32_e32 v93, 0x3f575c64, v92
	s_delay_alu instid0(VALU_DEP_4) | instskip(SKIP_1) | instid1(VALU_DEP_2)
	v_dual_add_f32 v128, v4, v128 :: v_dual_add_f32 v107, v110, v107
	v_fmac_f32_e32 v113, 0xbe11bafb, v99
	v_dual_fmac_f32 v125, 0x3f7d64f0, v7 :: v_dual_add_f32 v124, v131, v128
	v_mul_f32_e32 v131, 0xbf4178ce, v11
	v_fmac_f32_e32 v134, 0xbf27a4f4, v95
	v_mul_f32_e32 v128, 0xbf27a4f4, v23
	s_delay_alu instid0(VALU_DEP_1) | instskip(NEXT) | instid1(VALU_DEP_1)
	v_dual_add_f32 v124, v134, v124 :: v_dual_fmamk_f32 v123, v44, 0x3f4178ce, v128
	v_dual_add_f32 v124, v135, v124 :: v_dual_mul_f32 v135, 0xbf0a6770, v14
	v_fma_f32 v14, 0xbe11bafb, v23, -v112
	s_delay_alu instid0(VALU_DEP_3) | instskip(SKIP_1) | instid1(VALU_DEP_4)
	v_add_f32_e32 v123, v5, v123
	v_fma_f32 v23, 0x3f575c64, v23, -v21
	v_dual_add_f32 v11, v130, v124 :: v_dual_mul_f32 v130, 0x3f7d64f0, v13
	s_delay_alu instid0(VALU_DEP_4)
	v_add_f32_e32 v14, v5, v14
	v_fmamk_f32 v124, v92, 0xbf27a4f4, v131
	v_add_f32_e32 v13, v132, v123
	v_fmamk_f32 v123, v60, 0x3f0a6770, v133
	v_fmamk_f32 v134, v48, 0xbe11bafb, v130
	v_mul_f32_e32 v132, 0xbf75a155, v87
	v_dual_add_f32 v124, v4, v124 :: v_dual_add_f32 v23, v5, v23
	s_delay_alu instid0(VALU_DEP_4) | instskip(NEXT) | instid1(VALU_DEP_2)
	v_add_f32_e32 v13, v123, v13
	v_dual_fmamk_f32 v112, v59, 0x3e903f40, v132 :: v_dual_add_f32 v123, v134, v124
	v_mul_f32_e32 v134, 0xbe903f40, v18
	v_fma_f32 v18, 0xbf75a155, v54, -v114
	v_mul_f32_e32 v114, 0x3ed4b147, v98
	s_delay_alu instid0(VALU_DEP_4) | instskip(SKIP_1) | instid1(VALU_DEP_4)
	v_dual_fmamk_f32 v124, v95, 0x3f575c64, v135 :: v_dual_add_f32 v13, v112, v13
	v_fmac_f32_e32 v132, 0xbe903f40, v59
	v_add_f32_e32 v14, v18, v14
	v_fma_f32 v18, 0x3ed4b147, v52, -v115
	s_delay_alu instid0(VALU_DEP_4) | instskip(SKIP_2) | instid1(VALU_DEP_4)
	v_dual_fmamk_f32 v112, v94, 0xbf68dda4, v114 :: v_dual_add_f32 v123, v124, v123
	v_fmamk_f32 v124, v99, 0xbf75a155, v134
	v_fmac_f32_e32 v114, 0x3f68dda4, v94
	v_add_f32_e32 v18, v18, v14
	s_delay_alu instid0(VALU_DEP_4) | instskip(SKIP_2) | instid1(VALU_DEP_4)
	v_add_f32_e32 v14, v112, v13
	v_fma_f32 v112, 0xbf27a4f4, v98, -v120
	v_add_f32_e32 v115, v124, v123
	v_dual_fmamk_f32 v123, v104, 0x3ed4b147, v102 :: v_dual_add_f32 v18, v118, v18
	v_fmac_f32_e32 v133, 0xbf0a6770, v60
	s_delay_alu instid0(VALU_DEP_2) | instskip(SKIP_4) | instid1(VALU_DEP_4)
	v_add_f32_e32 v13, v123, v115
	v_dual_add_f32 v115, v4, v117 :: v_dual_fmac_f32 v128, 0xbf4178ce, v44
	v_dual_add_f32 v20, v20, v22 :: v_dual_add_f32 v117, v5, v19
	v_fma_f32 v22, 0x3ed4b147, v54, -v45
	v_add_f32_e32 v19, v112, v18
	v_add_f32_e32 v5, v5, v128
	s_delay_alu instid0(VALU_DEP_4) | instskip(SKIP_1) | instid1(VALU_DEP_2)
	v_add_f32_e32 v20, v57, v20
	v_dual_add_f32 v18, v119, v115 :: v_dual_add_f32 v45, v4, v93
	v_dual_add_f32 v101, v101, v117 :: v_dual_add_f32 v20, v47, v20
	s_delay_alu instid0(VALU_DEP_1) | instskip(SKIP_1) | instid1(VALU_DEP_1)
	v_dual_add_f32 v18, v121, v18 :: v_dual_add_f32 v101, v103, v101
	v_fma_f32 v103, 0xbe11bafb, v87, -v108
	v_dual_add_f32 v20, v49, v20 :: v_dual_add_f32 v101, v103, v101
	s_delay_alu instid0(VALU_DEP_1) | instskip(SKIP_1) | instid1(VALU_DEP_2)
	v_add_f32_e32 v20, v51, v20
	v_fma_f32 v103, 0x3f575c64, v98, -v111
	v_add_f32_e32 v20, v53, v20
	v_dual_add_f32 v22, v22, v23 :: v_dual_add_f32 v23, v4, v64
	s_delay_alu instid0(VALU_DEP_3) | instskip(SKIP_1) | instid1(VALU_DEP_3)
	v_add_f32_e32 v21, v103, v101
	v_add_f32_e32 v101, v113, v107
	v_dual_add_f32 v15, v15, v20 :: v_dual_add_f32 v22, v46, v22
	v_fma_f32 v46, 0xbf27a4f4, v87, -v86
	v_add_f32_e32 v23, v84, v23
	v_fma_f32 v20, 0xbf27a4f4, v92, -v131
	s_delay_alu instid0(VALU_DEP_4)
	v_add_f32_e32 v7, v16, v15
	v_fma_f32 v15, 0xbe11bafb, v48, -v130
	v_add_f32_e32 v22, v46, v22
	v_fma_f32 v46, 0xbf75a155, v98, -v97
	v_fmac_f32_e32 v50, 0x3ed4b147, v48
	v_fmac_f32_e32 v122, 0x3f575c64, v99
	v_dual_add_f32 v23, v55, v23 :: v_dual_add_f32 v4, v4, v20
	v_add_f32_e32 v20, v125, v5
	s_delay_alu instid0(VALU_DEP_4) | instskip(NEXT) | instid1(VALU_DEP_3)
	v_add_f32_e32 v45, v50, v45
	v_dual_add_f32 v18, v122, v18 :: v_dual_add_f32 v47, v56, v23
	v_add_f32_e32 v23, v46, v22
	v_dual_add_f32 v5, v6, v7 :: v_dual_add_f32 v4, v15, v4
	s_delay_alu instid0(VALU_DEP_3) | instskip(NEXT) | instid1(VALU_DEP_4)
	v_add_f32_e32 v18, v127, v18
	v_add_f32_e32 v46, v61, v47
	v_fma_f32 v6, 0x3f575c64, v95, -v135
	v_dual_fmac_f32 v100, 0xbf27a4f4, v99 :: v_dual_add_f32 v15, v133, v20
	s_delay_alu instid0(VALU_DEP_3) | instskip(NEXT) | instid1(VALU_DEP_3)
	v_add_f32_e32 v44, v85, v46
	v_add_f32_e32 v4, v6, v4
	v_fma_f32 v6, 0xbf75a155, v99, -v134
	s_delay_alu instid0(VALU_DEP_3) | instskip(NEXT) | instid1(VALU_DEP_2)
	v_dual_add_f32 v15, v132, v15 :: v_dual_add_f32 v16, v58, v44
	v_add_f32_e32 v6, v6, v4
	s_delay_alu instid0(VALU_DEP_2) | instskip(SKIP_4) | instid1(VALU_DEP_4)
	v_add_f32_e32 v7, v17, v16
	v_add_f32_e32 v45, v96, v45
	v_mul_u32_u24_e32 v16, 0xb0, v91
	v_fmac_f32_e32 v116, 0x3f575c64, v104
	v_fma_f32 v17, 0x3ed4b147, v104, -v102
	v_dual_fmac_f32 v106, 0xbf75a155, v104 :: v_dual_add_f32 v45, v100, v45
	v_add_f32_e32 v7, v63, v7
	v_or_b32_e32 v16, v16, v90
	v_add_f32_e32 v20, v116, v101
	s_delay_alu instid0(VALU_DEP_3) | instskip(NEXT) | instid1(VALU_DEP_3)
	v_add_f32_e32 v4, v62, v7
	v_lshlrev_b32_e32 v44, 3, v16
	v_dual_add_f32 v16, v114, v15 :: v_dual_add_f32 v15, v17, v6
	v_dual_add_f32 v22, v106, v45 :: v_dual_add_f32 v7, v129, v126
	ds_store_2addr_b64 v44, v[4:5], v[22:23] offset1:16
	ds_store_2addr_b64 v44, v[20:21], v[18:19] offset0:32 offset1:48
	ds_store_2addr_b64 v44, v[13:14], v[11:12] offset0:64 offset1:80
	;; [unrolled: 1-line block ×4, first 2 shown]
	ds_store_b64 v44, v[0:1] offset:1280
.LBB0_37:
	s_wait_alu 0xfffe
	s_or_b32 exec_lo, exec_lo, s0
	global_wb scope:SCOPE_SE
	s_wait_dscnt 0x0
	s_barrier_signal -1
	s_barrier_wait -1
	global_inv scope:SCOPE_SE
	ds_load_b64 v[16:17], v88 offset:11264
	v_add_nc_u32_e32 v18, 0xa00, v88
	v_add_nc_u32_e32 v19, 0x2000, v88
	v_add_nc_u32_e32 v20, 0x1400, v88
	s_mov_b32 s2, 0xa052bf5b
	s_mov_b32 s3, 0x3f44afd6
	s_wait_dscnt 0x0
	v_mul_f32_e32 v21, v31, v17
	ds_load_2addr_b64 v[0:3], v18 offset0:32 offset1:208
	ds_load_2addr_b64 v[4:7], v19 offset0:32 offset1:208
	;; [unrolled: 1-line block ×3, first 2 shown]
	ds_load_2addr_b64 v[12:15], v88 offset1:176
	v_mul_f32_e32 v22, v31, v16
	global_wb scope:SCOPE_SE
	s_wait_dscnt 0x0
	s_barrier_signal -1
	s_barrier_wait -1
	global_inv scope:SCOPE_SE
	v_mul_f32_e32 v31, v25, v2
	v_dual_mul_f32 v23, v25, v3 :: v_dual_mul_f32 v44, v27, v5
	v_dual_mul_f32 v45, v27, v4 :: v_dual_mul_f32 v46, v25, v9
	v_mul_f32_e32 v47, v27, v7
	s_delay_alu instid0(VALU_DEP_4) | instskip(NEXT) | instid1(VALU_DEP_4)
	v_fma_f32 v3, v24, v3, -v31
	v_fmac_f32_e32 v44, v26, v4
	s_delay_alu instid0(VALU_DEP_4) | instskip(SKIP_3) | instid1(VALU_DEP_4)
	v_fma_f32 v5, v26, v5, -v45
	v_fmac_f32_e32 v23, v24, v2
	v_dual_mul_f32 v27, v27, v6 :: v_dual_mul_f32 v48, v29, v11
	v_mul_f32_e32 v25, v25, v8
	v_dual_fmac_f32 v47, v26, v6 :: v_dual_add_f32 v6, v3, v5
	s_delay_alu instid0(VALU_DEP_4)
	v_dual_add_f32 v2, v23, v44 :: v_dual_mul_f32 v29, v29, v10
	v_fmac_f32_e32 v46, v24, v8
	v_dual_fmac_f32 v21, v30, v16 :: v_dual_add_f32 v4, v12, v23
	v_fma_f32 v16, v26, v7, -v27
	v_fmac_f32_e32 v48, v28, v10
	v_fma_f32 v9, v24, v9, -v25
	v_dual_sub_f32 v7, v3, v5 :: v_dual_add_f32 v8, v13, v3
	v_fma_f32 v2, -0.5, v2, v12
	v_sub_f32_e32 v10, v23, v44
	v_fma_f32 v3, -0.5, v6, v13
	v_fma_f32 v17, v30, v17, -v22
	v_add_f32_e32 v5, v8, v5
	v_add_f32_e32 v4, v4, v44
	v_fmamk_f32 v6, v7, 0xbf5db3d7, v2
	v_fmac_f32_e32 v2, 0x3f5db3d7, v7
	v_add_f32_e32 v8, v46, v47
	v_fmamk_f32 v7, v10, 0x3f5db3d7, v3
	v_dual_fmac_f32 v3, 0xbf5db3d7, v10 :: v_dual_add_f32 v10, v9, v16
	v_sub_f32_e32 v13, v46, v47
	v_fma_f32 v22, v28, v11, -v29
	v_add_f32_e32 v11, v14, v46
	v_fma_f32 v14, -0.5, v8, v14
	v_dual_sub_f32 v12, v9, v16 :: v_dual_add_f32 v9, v15, v9
	s_delay_alu instid0(VALU_DEP_3) | instskip(NEXT) | instid1(VALU_DEP_2)
	v_dual_fmac_f32 v15, -0.5, v10 :: v_dual_add_f32 v8, v11, v47
	v_dual_sub_f32 v23, v22, v17 :: v_dual_fmamk_f32 v10, v12, 0xbf5db3d7, v14
	s_delay_alu instid0(VALU_DEP_2)
	v_dual_fmac_f32 v14, 0x3f5db3d7, v12 :: v_dual_fmamk_f32 v11, v13, 0x3f5db3d7, v15
	v_fmac_f32_e32 v15, 0xbf5db3d7, v13
	v_add_f32_e32 v13, v22, v17
	v_add_f32_e32 v9, v9, v16
	;; [unrolled: 1-line block ×4, first 2 shown]
	v_sub_f32_e32 v24, v48, v21
	v_fmac_f32_e32 v1, -0.5, v13
	v_add_f32_e32 v12, v48, v21
	s_delay_alu instid0(VALU_DEP_4) | instskip(NEXT) | instid1(VALU_DEP_3)
	v_add_f32_e32 v13, v22, v17
	v_fmamk_f32 v17, v24, 0x3f5db3d7, v1
	v_fmac_f32_e32 v1, 0xbf5db3d7, v24
	s_delay_alu instid0(VALU_DEP_4) | instskip(SKIP_2) | instid1(VALU_DEP_3)
	v_fma_f32 v0, -0.5, v12, v0
	v_add_f32_e32 v12, v16, v21
	v_add_nc_u32_e32 v21, 0x2000, v105
	v_fmamk_f32 v16, v23, 0xbf5db3d7, v0
	v_fmac_f32_e32 v0, 0x3f5db3d7, v23
	ds_store_2addr_b64 v88, v[4:5], v[6:7] offset1:176
	ds_store_2addr_b64 v18, v[2:3], v[8:9] offset0:32 offset1:208
	ds_store_2addr_b64 v20, v[10:11], v[14:15] offset0:64 offset1:240
	;; [unrolled: 1-line block ×3, first 2 shown]
	ds_store_b64 v105, v[0:1] offset:11264
	global_wb scope:SCOPE_SE
	s_wait_dscnt 0x0
	s_barrier_signal -1
	s_barrier_wait -1
	global_inv scope:SCOPE_SE
	ds_load_2addr_b64 v[0:3], v18 offset0:32 offset1:208
	ds_load_2addr_b64 v[4:7], v19 offset0:32 offset1:208
	;; [unrolled: 1-line block ×3, first 2 shown]
	ds_load_b64 v[16:17], v88 offset:11264
	ds_load_2addr_b64 v[12:15], v88 offset1:176
	s_wait_dscnt 0x3
	v_dual_mul_f32 v18, v41, v3 :: v_dual_mul_f32 v21, v43, v5
	v_dual_mul_f32 v19, v41, v2 :: v_dual_mul_f32 v22, v39, v7
	s_wait_dscnt 0x2
	s_delay_alu instid0(VALU_DEP_2) | instskip(SKIP_1) | instid1(VALU_DEP_3)
	v_dual_mul_f32 v23, v33, v11 :: v_dual_fmac_f32 v18, v40, v2
	v_mul_f32_e32 v2, v43, v4
	v_fma_f32 v3, v40, v3, -v19
	v_dual_fmac_f32 v22, v38, v6 :: v_dual_mul_f32 v19, v37, v9
	v_fmac_f32_e32 v21, v42, v4
	s_wait_dscnt 0x1
	v_dual_mul_f32 v4, v37, v8 :: v_dual_mul_f32 v25, v35, v17
	v_fma_f32 v5, v42, v5, -v2
	v_dual_fmac_f32 v19, v36, v8 :: v_dual_mul_f32 v2, v39, v6
	s_delay_alu instid0(VALU_DEP_3) | instskip(NEXT) | instid1(VALU_DEP_4)
	v_fma_f32 v9, v36, v9, -v4
	v_dual_mul_f32 v4, v33, v10 :: v_dual_fmac_f32 v25, v34, v16
	s_wait_dscnt 0x0
	v_add_f32_e32 v6, v12, v18
	v_fma_f32 v24, v38, v7, -v2
	v_add_f32_e32 v7, v3, v5
	v_dual_fmac_f32 v23, v32, v10 :: v_dual_mul_f32 v2, v35, v16
	v_fma_f32 v26, v32, v11, -v4
	v_dual_add_f32 v10, v13, v3 :: v_dual_sub_f32 v11, v18, v21
	v_sub_f32_e32 v8, v3, v5
	v_fma_f32 v3, -0.5, v7, v13
	v_add_f32_e32 v4, v18, v21
	v_fma_f32 v17, v34, v17, -v2
	v_add_f32_e32 v5, v10, v5
	v_dual_add_f32 v10, v14, v19 :: v_dual_sub_f32 v13, v19, v22
	v_fmamk_f32 v7, v11, 0x3f5db3d7, v3
	v_fma_f32 v2, -0.5, v4, v12
	v_dual_add_f32 v4, v6, v21 :: v_dual_fmac_f32 v3, 0xbf5db3d7, v11
	v_add_f32_e32 v11, v9, v24
	v_sub_f32_e32 v12, v9, v24
	s_delay_alu instid0(VALU_DEP_4) | instskip(SKIP_1) | instid1(VALU_DEP_4)
	v_fmamk_f32 v6, v8, 0xbf5db3d7, v2
	v_dual_fmac_f32 v2, 0x3f5db3d7, v8 :: v_dual_add_f32 v9, v15, v9
	v_dual_add_f32 v8, v19, v22 :: v_dual_fmac_f32 v15, -0.5, v11
	v_dual_sub_f32 v18, v26, v17 :: v_dual_add_f32 v19, v1, v26
	v_sub_f32_e32 v21, v23, v25
	s_delay_alu instid0(VALU_DEP_3) | instskip(SKIP_2) | instid1(VALU_DEP_3)
	v_fma_f32 v14, -0.5, v8, v14
	v_dual_add_f32 v8, v10, v22 :: v_dual_add_f32 v9, v9, v24
	v_dual_fmamk_f32 v11, v13, 0x3f5db3d7, v15 :: v_dual_add_f32 v16, v0, v23
	v_dual_fmac_f32 v15, 0xbf5db3d7, v13 :: v_dual_fmamk_f32 v10, v12, 0xbf5db3d7, v14
	v_dual_add_f32 v13, v26, v17 :: v_dual_fmac_f32 v14, 0x3f5db3d7, v12
	v_mad_co_u64_u32 v[32:33], null, s6, v65, 0
	v_mad_co_u64_u32 v[34:35], null, s4, v89, 0
	s_delay_alu instid0(VALU_DEP_3) | instskip(SKIP_2) | instid1(VALU_DEP_3)
	v_fmac_f32_e32 v1, -0.5, v13
	v_add_f32_e32 v12, v23, v25
	v_add_f32_e32 v13, v19, v17
	v_fmamk_f32 v17, v21, 0x3f5db3d7, v1
	s_delay_alu instid0(VALU_DEP_3) | instskip(SKIP_2) | instid1(VALU_DEP_3)
	v_fma_f32 v0, -0.5, v12, v0
	v_add_f32_e32 v12, v16, v25
	v_mad_co_u64_u32 v[36:37], null, s7, v65, v[33:34]
	v_fmamk_f32 v16, v18, 0xbf5db3d7, v0
	v_fmac_f32_e32 v0, 0x3f5db3d7, v18
	v_fmac_f32_e32 v1, 0xbf5db3d7, v21
	ds_store_b64 v88, v[6:7] offset:4224
	ds_store_b64 v88, v[2:3] offset:8448
	ds_store_2addr_b64 v88, v[4:5], v[8:9] offset1:176
	ds_store_b64 v88, v[14:15] offset:9856
	ds_store_b64 v88, v[12:13] offset:2816
	ds_store_2addr_b64 v20, v[10:11], v[16:17] offset0:64 offset1:240
	ds_store_b64 v88, v[0:1] offset:11264
	global_wb scope:SCOPE_SE
	s_wait_dscnt 0x0
	s_barrier_signal -1
	s_barrier_wait -1
	global_inv scope:SCOPE_SE
	ds_load_2addr_b64 v[0:3], v88 offset1:176
	v_add_nc_u32_e32 v4, 0xc00, v88
	v_add_nc_u32_e32 v8, 0x1800, v88
	v_mad_co_u64_u32 v[37:38], null, s5, v89, v[35:36]
	v_mov_b32_e32 v33, v36
	s_delay_alu instid0(VALU_DEP_1) | instskip(NEXT) | instid1(VALU_DEP_3)
	v_lshlrev_b64_e32 v[32:33], 3, v[32:33]
	v_mov_b32_e32 v35, v37
	s_delay_alu instid0(VALU_DEP_1) | instskip(NEXT) | instid1(VALU_DEP_3)
	v_lshlrev_b64_e32 v[34:35], 3, v[34:35]
	v_add_co_u32 v32, s0, s8, v32
	s_wait_alu 0xf1ff
	s_delay_alu instid0(VALU_DEP_4)
	v_add_co_ci_u32_e64 v33, s0, s9, v33, s0
	s_wait_dscnt 0x0
	v_mul_f32_e32 v25, v77, v2
	ds_load_2addr_b64 v[4:7], v4 offset0:12 offset1:188
	ds_load_2addr_b64 v[8:11], v8 offset0:24 offset1:200
	v_add_nc_u32_e32 v12, 0x2400, v88
	v_mul_f32_e32 v24, v77, v3
	s_movk_i32 s8, 0xfc0c
	v_fma_f32 v25, v76, v3, -v25
	s_mov_b32 s9, -1
	s_delay_alu instid0(VALU_DEP_2)
	v_fmac_f32_e32 v24, v76, v2
	s_wait_dscnt 0x1
	v_mul_f32_e32 v18, v83, v5
	s_wait_dscnt 0x0
	v_mul_f32_e32 v29, v75, v10
	ds_load_2addr_b64 v[12:15], v12 offset0:36 offset1:212
	v_mul_f32_e32 v16, v79, v1
	v_dual_mul_f32 v19, v83, v4 :: v_dual_mul_f32 v20, v81, v9
	v_mul_f32_e32 v21, v81, v8
	v_fmac_f32_e32 v18, v82, v4
	v_mul_f32_e32 v26, v69, v7
	s_delay_alu instid0(VALU_DEP_4)
	v_fma_f32 v19, v82, v5, -v19
	v_mul_f32_e32 v28, v75, v11
	v_fma_f32 v21, v80, v9, -v21
	v_cvt_f64_f32_e32 v[4:5], v18
	v_fmac_f32_e32 v26, v68, v6
	v_mul_f32_e32 v6, v69, v6
	v_fma_f32 v29, v74, v11, -v29
	v_fmac_f32_e32 v28, v74, v10
	s_delay_alu instid0(VALU_DEP_4) | instskip(NEXT) | instid1(VALU_DEP_4)
	v_cvt_f64_f32_e32 v[26:27], v26
	v_fma_f32 v6, v68, v7, -v6
	s_delay_alu instid0(VALU_DEP_3)
	v_cvt_f64_f32_e32 v[10:11], v28
	s_wait_dscnt 0x0
	v_mul_f32_e32 v23, v71, v12
	v_dual_mul_f32 v31, v73, v14 :: v_dual_fmac_f32 v16, v78, v0
	v_mul_f32_e32 v0, v79, v0
	v_fmac_f32_e32 v20, v80, v8
	v_cvt_f64_f32_e32 v[8:9], v19
	v_mul_f32_e32 v22, v71, v13
	v_cvt_f64_f32_e32 v[16:17], v16
	v_fma_f32 v0, v78, v1, -v0
	v_mul_f32_e32 v30, v73, v15
	v_fma_f32 v31, v72, v15, -v31
	v_fmac_f32_e32 v22, v70, v12
	v_fma_f32 v12, v70, v13, -v23
	v_cvt_f64_f32_e32 v[0:1], v0
	v_fmac_f32_e32 v30, v72, v14
	v_cvt_f64_f32_e32 v[18:19], v20
	v_cvt_f64_f32_e32 v[20:21], v21
	;; [unrolled: 1-line block ×10, first 2 shown]
	s_wait_alu 0xfffe
	v_mul_f64_e32 v[4:5], s[2:3], v[4:5]
	v_mul_f64_e32 v[26:27], s[2:3], v[26:27]
	;; [unrolled: 1-line block ×16, first 2 shown]
	v_cvt_f32_f64_e32 v4, v[4:5]
	v_cvt_f32_f64_e32 v5, v[8:9]
	;; [unrolled: 1-line block ×4, first 2 shown]
	v_add_co_u32 v0, s0, v32, v34
	s_wait_alu 0xf1ff
	v_add_co_ci_u32_e64 v1, s0, v33, v35, s0
	s_mul_u64 s[0:1], s[4:5], 0x18c
	v_cvt_f32_f64_e32 v8, v[18:19]
	s_wait_alu 0xfffe
	s_lshl_b64 s[6:7], s[0:1], 3
	v_cvt_f32_f64_e32 v9, v[20:21]
	v_cvt_f32_f64_e32 v2, v[2:3]
	;; [unrolled: 1-line block ×7, first 2 shown]
	s_wait_alu 0xfffe
	v_add_co_u32 v14, s0, v0, s6
	v_cvt_f32_f64_e32 v18, v[26:27]
	v_cvt_f32_f64_e32 v6, v[10:11]
	s_wait_alu 0xf1ff
	v_add_co_ci_u32_e64 v15, s0, s7, v1, s0
	v_cvt_f32_f64_e32 v10, v[28:29]
	v_cvt_f32_f64_e32 v11, v[30:31]
	v_add_co_u32 v20, s0, v14, s6
	s_wait_alu 0xf1ff
	v_add_co_ci_u32_e64 v21, s0, s7, v15, s0
	s_mul_u64 s[4:5], s[4:5], s[8:9]
	s_delay_alu instid0(VALU_DEP_2) | instskip(SKIP_1) | instid1(VALU_DEP_2)
	v_add_co_u32 v22, s0, v20, s6
	s_wait_alu 0xf1ff
	v_add_co_ci_u32_e64 v23, s0, s7, v21, s0
	s_wait_alu 0xfffe
	s_lshl_b64 s[4:5], s[4:5], 3
	s_wait_alu 0xfffe
	v_add_co_u32 v24, s0, v22, s4
	s_wait_alu 0xf1ff
	v_add_co_ci_u32_e64 v25, s0, s5, v23, s0
	global_store_b64 v[0:1], v[16:17], off
	v_add_co_u32 v16, s0, v24, s6
	s_wait_alu 0xf1ff
	v_add_co_ci_u32_e64 v17, s0, s7, v25, s0
	global_store_b64 v[14:15], v[4:5], off
	;; [unrolled: 4-line block ×3, first 2 shown]
	v_add_co_u32 v0, s0, v4, s6
	s_wait_alu 0xf1ff
	v_add_co_ci_u32_e64 v1, s0, s7, v5, s0
	s_clause 0x1
	global_store_b64 v[22:23], v[2:3], off
	global_store_b64 v[24:25], v[12:13], off
	;; [unrolled: 1-line block ×5, first 2 shown]
	s_and_b32 exec_lo, exec_lo, vcc_lo
	s_cbranch_execz .LBB0_39
; %bb.38:
	s_clause 0x3
	global_load_b64 v[2:3], v[66:67], off offset:2816
	global_load_b64 v[4:5], v[66:67], off offset:5984
	;; [unrolled: 1-line block ×4, first 2 shown]
	ds_load_b64 v[10:11], v88 offset:2816
	ds_load_b64 v[12:13], v88 offset:5984
	;; [unrolled: 1-line block ×4, first 2 shown]
	v_add_co_u32 v0, vcc_lo, v0, s4
	s_wait_alu 0xfffd
	v_add_co_ci_u32_e32 v1, vcc_lo, s5, v1, vcc_lo
	s_wait_loadcnt_dscnt 0x202
	v_dual_mul_f32 v18, v11, v3 :: v_dual_mul_f32 v19, v13, v5
	v_mul_f32_e32 v3, v10, v3
	s_wait_loadcnt_dscnt 0x101
	v_dual_mul_f32 v5, v12, v5 :: v_dual_mul_f32 v20, v15, v7
	v_mul_f32_e32 v7, v14, v7
	s_wait_loadcnt_dscnt 0x0
	v_dual_mul_f32 v21, v17, v9 :: v_dual_fmac_f32 v18, v10, v2
	s_delay_alu instid0(VALU_DEP_3)
	v_dual_mul_f32 v9, v16, v9 :: v_dual_fmac_f32 v20, v14, v6
	v_fma_f32 v10, v2, v11, -v3
	v_fmac_f32_e32 v19, v12, v4
	v_fma_f32 v11, v4, v13, -v5
	v_fma_f32 v12, v6, v15, -v7
	v_fmac_f32_e32 v21, v16, v8
	v_fma_f32 v16, v8, v17, -v9
	v_cvt_f64_f32_e32 v[2:3], v18
	v_cvt_f64_f32_e32 v[4:5], v10
	;; [unrolled: 1-line block ×8, first 2 shown]
	v_mul_f64_e32 v[2:3], s[2:3], v[2:3]
	v_mul_f64_e32 v[4:5], s[2:3], v[4:5]
	;; [unrolled: 1-line block ×8, first 2 shown]
	v_cvt_f32_f64_e32 v2, v[2:3]
	v_cvt_f32_f64_e32 v3, v[4:5]
	;; [unrolled: 1-line block ×8, first 2 shown]
	v_add_co_u32 v10, vcc_lo, v0, s6
	s_wait_alu 0xfffd
	v_add_co_ci_u32_e32 v11, vcc_lo, s7, v1, vcc_lo
	s_delay_alu instid0(VALU_DEP_2) | instskip(SKIP_1) | instid1(VALU_DEP_2)
	v_add_co_u32 v12, vcc_lo, v10, s6
	s_wait_alu 0xfffd
	v_add_co_ci_u32_e32 v13, vcc_lo, s7, v11, vcc_lo
	s_delay_alu instid0(VALU_DEP_2) | instskip(SKIP_1) | instid1(VALU_DEP_2)
	v_add_co_u32 v14, vcc_lo, v12, s6
	s_wait_alu 0xfffd
	v_add_co_ci_u32_e32 v15, vcc_lo, s7, v13, vcc_lo
	global_store_b64 v[0:1], v[2:3], off
	global_store_b64 v[10:11], v[4:5], off
	;; [unrolled: 1-line block ×4, first 2 shown]
.LBB0_39:
	s_nop 0
	s_sendmsg sendmsg(MSG_DEALLOC_VGPRS)
	s_endpgm
	.section	.rodata,"a",@progbits
	.p2align	6, 0x0
	.amdhsa_kernel bluestein_single_back_len1584_dim1_sp_op_CI_CI
		.amdhsa_group_segment_fixed_size 12672
		.amdhsa_private_segment_fixed_size 0
		.amdhsa_kernarg_size 104
		.amdhsa_user_sgpr_count 2
		.amdhsa_user_sgpr_dispatch_ptr 0
		.amdhsa_user_sgpr_queue_ptr 0
		.amdhsa_user_sgpr_kernarg_segment_ptr 1
		.amdhsa_user_sgpr_dispatch_id 0
		.amdhsa_user_sgpr_private_segment_size 0
		.amdhsa_wavefront_size32 1
		.amdhsa_uses_dynamic_stack 0
		.amdhsa_enable_private_segment 0
		.amdhsa_system_sgpr_workgroup_id_x 1
		.amdhsa_system_sgpr_workgroup_id_y 0
		.amdhsa_system_sgpr_workgroup_id_z 0
		.amdhsa_system_sgpr_workgroup_info 0
		.amdhsa_system_vgpr_workitem_id 0
		.amdhsa_next_free_vgpr 177
		.amdhsa_next_free_sgpr 18
		.amdhsa_reserve_vcc 1
		.amdhsa_float_round_mode_32 0
		.amdhsa_float_round_mode_16_64 0
		.amdhsa_float_denorm_mode_32 3
		.amdhsa_float_denorm_mode_16_64 3
		.amdhsa_fp16_overflow 0
		.amdhsa_workgroup_processor_mode 1
		.amdhsa_memory_ordered 1
		.amdhsa_forward_progress 0
		.amdhsa_round_robin_scheduling 0
		.amdhsa_exception_fp_ieee_invalid_op 0
		.amdhsa_exception_fp_denorm_src 0
		.amdhsa_exception_fp_ieee_div_zero 0
		.amdhsa_exception_fp_ieee_overflow 0
		.amdhsa_exception_fp_ieee_underflow 0
		.amdhsa_exception_fp_ieee_inexact 0
		.amdhsa_exception_int_div_zero 0
	.end_amdhsa_kernel
	.text
.Lfunc_end0:
	.size	bluestein_single_back_len1584_dim1_sp_op_CI_CI, .Lfunc_end0-bluestein_single_back_len1584_dim1_sp_op_CI_CI
                                        ; -- End function
	.section	.AMDGPU.csdata,"",@progbits
; Kernel info:
; codeLenInByte = 13956
; NumSgprs: 20
; NumVgprs: 177
; ScratchSize: 0
; MemoryBound: 0
; FloatMode: 240
; IeeeMode: 1
; LDSByteSize: 12672 bytes/workgroup (compile time only)
; SGPRBlocks: 2
; VGPRBlocks: 22
; NumSGPRsForWavesPerEU: 20
; NumVGPRsForWavesPerEU: 177
; Occupancy: 8
; WaveLimiterHint : 1
; COMPUTE_PGM_RSRC2:SCRATCH_EN: 0
; COMPUTE_PGM_RSRC2:USER_SGPR: 2
; COMPUTE_PGM_RSRC2:TRAP_HANDLER: 0
; COMPUTE_PGM_RSRC2:TGID_X_EN: 1
; COMPUTE_PGM_RSRC2:TGID_Y_EN: 0
; COMPUTE_PGM_RSRC2:TGID_Z_EN: 0
; COMPUTE_PGM_RSRC2:TIDIG_COMP_CNT: 0
	.text
	.p2alignl 7, 3214868480
	.fill 96, 4, 3214868480
	.type	__hip_cuid_5f5c3f2391b3c585,@object ; @__hip_cuid_5f5c3f2391b3c585
	.section	.bss,"aw",@nobits
	.globl	__hip_cuid_5f5c3f2391b3c585
__hip_cuid_5f5c3f2391b3c585:
	.byte	0                               ; 0x0
	.size	__hip_cuid_5f5c3f2391b3c585, 1

	.ident	"AMD clang version 19.0.0git (https://github.com/RadeonOpenCompute/llvm-project roc-6.4.0 25133 c7fe45cf4b819c5991fe208aaa96edf142730f1d)"
	.section	".note.GNU-stack","",@progbits
	.addrsig
	.addrsig_sym __hip_cuid_5f5c3f2391b3c585
	.amdgpu_metadata
---
amdhsa.kernels:
  - .args:
      - .actual_access:  read_only
        .address_space:  global
        .offset:         0
        .size:           8
        .value_kind:     global_buffer
      - .actual_access:  read_only
        .address_space:  global
        .offset:         8
        .size:           8
        .value_kind:     global_buffer
      - .actual_access:  read_only
        .address_space:  global
        .offset:         16
        .size:           8
        .value_kind:     global_buffer
      - .actual_access:  read_only
        .address_space:  global
        .offset:         24
        .size:           8
        .value_kind:     global_buffer
      - .actual_access:  read_only
        .address_space:  global
        .offset:         32
        .size:           8
        .value_kind:     global_buffer
      - .offset:         40
        .size:           8
        .value_kind:     by_value
      - .address_space:  global
        .offset:         48
        .size:           8
        .value_kind:     global_buffer
      - .address_space:  global
        .offset:         56
        .size:           8
        .value_kind:     global_buffer
      - .address_space:  global
        .offset:         64
        .size:           8
        .value_kind:     global_buffer
      - .address_space:  global
        .offset:         72
        .size:           8
        .value_kind:     global_buffer
      - .offset:         80
        .size:           4
        .value_kind:     by_value
      - .address_space:  global
        .offset:         88
        .size:           8
        .value_kind:     global_buffer
      - .address_space:  global
        .offset:         96
        .size:           8
        .value_kind:     global_buffer
    .group_segment_fixed_size: 12672
    .kernarg_segment_align: 8
    .kernarg_segment_size: 104
    .language:       OpenCL C
    .language_version:
      - 2
      - 0
    .max_flat_workgroup_size: 176
    .name:           bluestein_single_back_len1584_dim1_sp_op_CI_CI
    .private_segment_fixed_size: 0
    .sgpr_count:     20
    .sgpr_spill_count: 0
    .symbol:         bluestein_single_back_len1584_dim1_sp_op_CI_CI.kd
    .uniform_work_group_size: 1
    .uses_dynamic_stack: false
    .vgpr_count:     177
    .vgpr_spill_count: 0
    .wavefront_size: 32
    .workgroup_processor_mode: 1
amdhsa.target:   amdgcn-amd-amdhsa--gfx1201
amdhsa.version:
  - 1
  - 2
...

	.end_amdgpu_metadata
